;; amdgpu-corpus repo=ROCm/rocFFT kind=compiled arch=gfx906 opt=O3
	.text
	.amdgcn_target "amdgcn-amd-amdhsa--gfx906"
	.amdhsa_code_object_version 6
	.protected	fft_rtc_fwd_len1377_factors_17_3_9_3_wgs_51_tpt_51_halfLds_dp_op_CI_CI_sbrr_dirReg ; -- Begin function fft_rtc_fwd_len1377_factors_17_3_9_3_wgs_51_tpt_51_halfLds_dp_op_CI_CI_sbrr_dirReg
	.globl	fft_rtc_fwd_len1377_factors_17_3_9_3_wgs_51_tpt_51_halfLds_dp_op_CI_CI_sbrr_dirReg
	.p2align	8
	.type	fft_rtc_fwd_len1377_factors_17_3_9_3_wgs_51_tpt_51_halfLds_dp_op_CI_CI_sbrr_dirReg,@function
fft_rtc_fwd_len1377_factors_17_3_9_3_wgs_51_tpt_51_halfLds_dp_op_CI_CI_sbrr_dirReg: ; @fft_rtc_fwd_len1377_factors_17_3_9_3_wgs_51_tpt_51_halfLds_dp_op_CI_CI_sbrr_dirReg
; %bb.0:
	s_load_dwordx4 s[16:19], s[4:5], 0x18
	s_load_dwordx4 s[12:15], s[4:5], 0x0
	;; [unrolled: 1-line block ×3, first 2 shown]
	v_mul_u32_u24_e32 v1, 0x506, v0
	v_add_u32_sdwa v6, s6, v1 dst_sel:DWORD dst_unused:UNUSED_PAD src0_sel:DWORD src1_sel:WORD_1
	s_waitcnt lgkmcnt(0)
	s_load_dwordx2 s[20:21], s[16:17], 0x0
	s_load_dwordx2 s[2:3], s[18:19], 0x0
	v_cmp_lt_u64_e64 s[0:1], s[14:15], 2
	v_mov_b32_e32 v1, 0
	v_mov_b32_e32 v4, 0
	;; [unrolled: 1-line block ×3, first 2 shown]
	s_and_b64 vcc, exec, s[0:1]
	v_mov_b32_e32 v5, 0
	s_cbranch_vccnz .LBB0_8
; %bb.1:
	s_load_dwordx2 s[0:1], s[4:5], 0x10
	s_add_u32 s6, s18, 8
	s_addc_u32 s7, s19, 0
	s_add_u32 s22, s16, 8
	v_mov_b32_e32 v4, 0
	s_addc_u32 s23, s17, 0
	v_mov_b32_e32 v5, 0
	s_waitcnt lgkmcnt(0)
	s_add_u32 s24, s0, 8
	v_mov_b32_e32 v137, v5
	s_addc_u32 s25, s1, 0
	s_mov_b64 s[26:27], 1
	v_mov_b32_e32 v136, v4
.LBB0_2:                                ; =>This Inner Loop Header: Depth=1
	s_load_dwordx2 s[28:29], s[24:25], 0x0
                                        ; implicit-def: $vgpr138_vgpr139
	s_waitcnt lgkmcnt(0)
	v_or_b32_e32 v2, s29, v7
	v_cmp_ne_u64_e32 vcc, 0, v[1:2]
	s_and_saveexec_b64 s[0:1], vcc
	s_xor_b64 s[30:31], exec, s[0:1]
	s_cbranch_execz .LBB0_4
; %bb.3:                                ;   in Loop: Header=BB0_2 Depth=1
	v_cvt_f32_u32_e32 v2, s28
	v_cvt_f32_u32_e32 v3, s29
	s_sub_u32 s0, 0, s28
	s_subb_u32 s1, 0, s29
	v_mac_f32_e32 v2, 0x4f800000, v3
	v_rcp_f32_e32 v2, v2
	v_mul_f32_e32 v2, 0x5f7ffffc, v2
	v_mul_f32_e32 v3, 0x2f800000, v2
	v_trunc_f32_e32 v3, v3
	v_mac_f32_e32 v2, 0xcf800000, v3
	v_cvt_u32_f32_e32 v3, v3
	v_cvt_u32_f32_e32 v2, v2
	v_mul_lo_u32 v8, s0, v3
	v_mul_hi_u32 v9, s0, v2
	v_mul_lo_u32 v11, s1, v2
	v_mul_lo_u32 v10, s0, v2
	v_add_u32_e32 v8, v9, v8
	v_add_u32_e32 v8, v8, v11
	v_mul_hi_u32 v9, v2, v10
	v_mul_lo_u32 v11, v2, v8
	v_mul_hi_u32 v13, v2, v8
	v_mul_hi_u32 v12, v3, v10
	v_mul_lo_u32 v10, v3, v10
	v_mul_hi_u32 v14, v3, v8
	v_add_co_u32_e32 v9, vcc, v9, v11
	v_addc_co_u32_e32 v11, vcc, 0, v13, vcc
	v_mul_lo_u32 v8, v3, v8
	v_add_co_u32_e32 v9, vcc, v9, v10
	v_addc_co_u32_e32 v9, vcc, v11, v12, vcc
	v_addc_co_u32_e32 v10, vcc, 0, v14, vcc
	v_add_co_u32_e32 v8, vcc, v9, v8
	v_addc_co_u32_e32 v9, vcc, 0, v10, vcc
	v_add_co_u32_e32 v2, vcc, v2, v8
	v_addc_co_u32_e32 v3, vcc, v3, v9, vcc
	v_mul_lo_u32 v8, s0, v3
	v_mul_hi_u32 v9, s0, v2
	v_mul_lo_u32 v10, s1, v2
	v_mul_lo_u32 v11, s0, v2
	v_add_u32_e32 v8, v9, v8
	v_add_u32_e32 v8, v8, v10
	v_mul_lo_u32 v12, v2, v8
	v_mul_hi_u32 v13, v2, v11
	v_mul_hi_u32 v14, v2, v8
	;; [unrolled: 1-line block ×3, first 2 shown]
	v_mul_lo_u32 v11, v3, v11
	v_mul_hi_u32 v9, v3, v8
	v_add_co_u32_e32 v12, vcc, v13, v12
	v_addc_co_u32_e32 v13, vcc, 0, v14, vcc
	v_mul_lo_u32 v8, v3, v8
	v_add_co_u32_e32 v11, vcc, v12, v11
	v_addc_co_u32_e32 v10, vcc, v13, v10, vcc
	v_addc_co_u32_e32 v9, vcc, 0, v9, vcc
	v_add_co_u32_e32 v8, vcc, v10, v8
	v_addc_co_u32_e32 v9, vcc, 0, v9, vcc
	v_add_co_u32_e32 v8, vcc, v2, v8
	v_addc_co_u32_e32 v9, vcc, v3, v9, vcc
	v_mad_u64_u32 v[2:3], s[0:1], v6, v9, 0
	v_mul_hi_u32 v10, v6, v8
	v_add_co_u32_e32 v10, vcc, v10, v2
	v_addc_co_u32_e32 v11, vcc, 0, v3, vcc
	v_mad_u64_u32 v[2:3], s[0:1], v7, v8, 0
	v_mad_u64_u32 v[8:9], s[0:1], v7, v9, 0
	v_add_co_u32_e32 v2, vcc, v10, v2
	v_addc_co_u32_e32 v2, vcc, v11, v3, vcc
	v_addc_co_u32_e32 v3, vcc, 0, v9, vcc
	v_add_co_u32_e32 v8, vcc, v2, v8
	v_addc_co_u32_e32 v9, vcc, 0, v3, vcc
	v_mul_lo_u32 v10, s29, v8
	v_mul_lo_u32 v11, s28, v9
	v_mad_u64_u32 v[2:3], s[0:1], s28, v8, 0
	v_add3_u32 v3, v3, v11, v10
	v_sub_u32_e32 v10, v7, v3
	v_mov_b32_e32 v11, s29
	v_sub_co_u32_e32 v2, vcc, v6, v2
	v_subb_co_u32_e64 v10, s[0:1], v10, v11, vcc
	v_subrev_co_u32_e64 v11, s[0:1], s28, v2
	v_subbrev_co_u32_e64 v10, s[0:1], 0, v10, s[0:1]
	v_cmp_le_u32_e64 s[0:1], s29, v10
	v_cndmask_b32_e64 v12, 0, -1, s[0:1]
	v_cmp_le_u32_e64 s[0:1], s28, v11
	v_cndmask_b32_e64 v11, 0, -1, s[0:1]
	v_cmp_eq_u32_e64 s[0:1], s29, v10
	v_cndmask_b32_e64 v10, v12, v11, s[0:1]
	v_add_co_u32_e64 v11, s[0:1], 2, v8
	v_addc_co_u32_e64 v12, s[0:1], 0, v9, s[0:1]
	v_add_co_u32_e64 v13, s[0:1], 1, v8
	v_addc_co_u32_e64 v14, s[0:1], 0, v9, s[0:1]
	v_subb_co_u32_e32 v3, vcc, v7, v3, vcc
	v_cmp_ne_u32_e64 s[0:1], 0, v10
	v_cmp_le_u32_e32 vcc, s29, v3
	v_cndmask_b32_e64 v10, v14, v12, s[0:1]
	v_cndmask_b32_e64 v12, 0, -1, vcc
	v_cmp_le_u32_e32 vcc, s28, v2
	v_cndmask_b32_e64 v2, 0, -1, vcc
	v_cmp_eq_u32_e32 vcc, s29, v3
	v_cndmask_b32_e32 v2, v12, v2, vcc
	v_cmp_ne_u32_e32 vcc, 0, v2
	v_cndmask_b32_e64 v2, v13, v11, s[0:1]
	v_cndmask_b32_e32 v139, v9, v10, vcc
	v_cndmask_b32_e32 v138, v8, v2, vcc
.LBB0_4:                                ;   in Loop: Header=BB0_2 Depth=1
	s_andn2_saveexec_b64 s[0:1], s[30:31]
	s_cbranch_execz .LBB0_6
; %bb.5:                                ;   in Loop: Header=BB0_2 Depth=1
	v_cvt_f32_u32_e32 v2, s28
	s_sub_i32 s30, 0, s28
	v_mov_b32_e32 v139, v1
	v_rcp_iflag_f32_e32 v2, v2
	v_mul_f32_e32 v2, 0x4f7ffffe, v2
	v_cvt_u32_f32_e32 v2, v2
	v_mul_lo_u32 v3, s30, v2
	v_mul_hi_u32 v3, v2, v3
	v_add_u32_e32 v2, v2, v3
	v_mul_hi_u32 v2, v6, v2
	v_mul_lo_u32 v3, v2, s28
	v_add_u32_e32 v8, 1, v2
	v_sub_u32_e32 v3, v6, v3
	v_subrev_u32_e32 v9, s28, v3
	v_cmp_le_u32_e32 vcc, s28, v3
	v_cndmask_b32_e32 v3, v3, v9, vcc
	v_cndmask_b32_e32 v2, v2, v8, vcc
	v_add_u32_e32 v8, 1, v2
	v_cmp_le_u32_e32 vcc, s28, v3
	v_cndmask_b32_e32 v138, v2, v8, vcc
.LBB0_6:                                ;   in Loop: Header=BB0_2 Depth=1
	s_or_b64 exec, exec, s[0:1]
	v_mul_lo_u32 v8, v139, s28
	v_mul_lo_u32 v9, v138, s29
	v_mad_u64_u32 v[2:3], s[0:1], v138, s28, 0
	s_load_dwordx2 s[0:1], s[22:23], 0x0
	s_load_dwordx2 s[28:29], s[6:7], 0x0
	v_add3_u32 v3, v3, v9, v8
	v_sub_co_u32_e32 v2, vcc, v6, v2
	v_subb_co_u32_e32 v3, vcc, v7, v3, vcc
	s_waitcnt lgkmcnt(0)
	v_mul_lo_u32 v6, s0, v3
	v_mul_lo_u32 v7, s1, v2
	v_mad_u64_u32 v[4:5], s[0:1], s0, v2, v[4:5]
	v_mul_lo_u32 v3, s28, v3
	v_mul_lo_u32 v8, s29, v2
	v_mad_u64_u32 v[136:137], s[0:1], s28, v2, v[136:137]
	s_add_u32 s26, s26, 1
	s_addc_u32 s27, s27, 0
	s_add_u32 s6, s6, 8
	v_add3_u32 v137, v8, v137, v3
	s_addc_u32 s7, s7, 0
	v_mov_b32_e32 v2, s14
	s_add_u32 s22, s22, 8
	v_mov_b32_e32 v3, s15
	s_addc_u32 s23, s23, 0
	v_cmp_ge_u64_e32 vcc, s[26:27], v[2:3]
	s_add_u32 s24, s24, 8
	v_add3_u32 v5, v7, v5, v6
	s_addc_u32 s25, s25, 0
	s_cbranch_vccnz .LBB0_9
; %bb.7:                                ;   in Loop: Header=BB0_2 Depth=1
	v_mov_b32_e32 v6, v138
	v_mov_b32_e32 v7, v139
	s_branch .LBB0_2
.LBB0_8:
	v_mov_b32_e32 v137, v5
	v_mov_b32_e32 v139, v7
	;; [unrolled: 1-line block ×4, first 2 shown]
.LBB0_9:
	s_load_dwordx2 s[0:1], s[4:5], 0x28
	s_lshl_b64 s[14:15], s[14:15], 3
	s_add_u32 s4, s18, s14
	s_addc_u32 s5, s19, s15
                                        ; implicit-def: $vgpr174
	s_waitcnt lgkmcnt(0)
	v_cmp_gt_u64_e32 vcc, s[0:1], v[138:139]
	v_cmp_le_u64_e64 s[0:1], s[0:1], v[138:139]
	s_and_saveexec_b64 s[6:7], s[0:1]
	s_xor_b64 s[0:1], exec, s[6:7]
; %bb.10:
	s_mov_b32 s6, 0x5050506
	v_mul_hi_u32 v1, v0, s6
                                        ; implicit-def: $vgpr4_vgpr5
	v_mul_u32_u24_e32 v1, 51, v1
	v_sub_u32_e32 v174, v0, v1
                                        ; implicit-def: $vgpr0
; %bb.11:
	s_or_saveexec_b64 s[6:7], s[0:1]
	s_load_dwordx2 s[4:5], s[4:5], 0x0
                                        ; implicit-def: $vgpr86_vgpr87
                                        ; implicit-def: $vgpr82_vgpr83
                                        ; implicit-def: $vgpr70_vgpr71
                                        ; implicit-def: $vgpr50_vgpr51
                                        ; implicit-def: $vgpr42_vgpr43
                                        ; implicit-def: $vgpr34_vgpr35
                                        ; implicit-def: $vgpr22_vgpr23
                                        ; implicit-def: $vgpr6_vgpr7
                                        ; implicit-def: $vgpr2_vgpr3
                                        ; implicit-def: $vgpr10_vgpr11
                                        ; implicit-def: $vgpr14_vgpr15
                                        ; implicit-def: $vgpr18_vgpr19
                                        ; implicit-def: $vgpr26_vgpr27
                                        ; implicit-def: $vgpr38_vgpr39
                                        ; implicit-def: $vgpr46_vgpr47
                                        ; implicit-def: $vgpr62_vgpr63
                                        ; implicit-def: $vgpr30_vgpr31
                                        ; implicit-def: $vgpr130_vgpr131
                                        ; implicit-def: $vgpr126_vgpr127
                                        ; implicit-def: $vgpr134_vgpr135
                                        ; implicit-def: $vgpr118_vgpr119
                                        ; implicit-def: $vgpr106_vgpr107
                                        ; implicit-def: $vgpr94_vgpr95
                                        ; implicit-def: $vgpr78_vgpr79
                                        ; implicit-def: $vgpr58_vgpr59
                                        ; implicit-def: $vgpr54_vgpr55
                                        ; implicit-def: $vgpr66_vgpr67
                                        ; implicit-def: $vgpr74_vgpr75
                                        ; implicit-def: $vgpr90_vgpr91
                                        ; implicit-def: $vgpr102_vgpr103
                                        ; implicit-def: $vgpr110_vgpr111
                                        ; implicit-def: $vgpr114_vgpr115
                                        ; implicit-def: $vgpr122_vgpr123
                                        ; implicit-def: $vgpr98_vgpr99
	s_xor_b64 exec, exec, s[6:7]
	s_cbranch_execz .LBB0_15
; %bb.12:
	s_add_u32 s0, s16, s14
	s_mov_b32 s14, 0x5050506
	s_addc_u32 s1, s17, s15
	v_mul_hi_u32 v1, v0, s14
	s_load_dwordx2 s[0:1], s[0:1], 0x0
                                        ; implicit-def: $vgpr28_vgpr29
                                        ; implicit-def: $vgpr60_vgpr61
                                        ; implicit-def: $vgpr44_vgpr45
                                        ; implicit-def: $vgpr36_vgpr37
                                        ; implicit-def: $vgpr24_vgpr25
                                        ; implicit-def: $vgpr16_vgpr17
                                        ; implicit-def: $vgpr12_vgpr13
                                        ; implicit-def: $vgpr20_vgpr21
                                        ; implicit-def: $vgpr32_vgpr33
                                        ; implicit-def: $vgpr40_vgpr41
                                        ; implicit-def: $vgpr48_vgpr49
                                        ; implicit-def: $vgpr68_vgpr69
                                        ; implicit-def: $vgpr80_vgpr81
                                        ; implicit-def: $vgpr84_vgpr85
	v_mul_u32_u24_e32 v1, 51, v1
	v_sub_u32_e32 v174, v0, v1
	s_waitcnt lgkmcnt(0)
	v_mul_lo_u32 v8, s1, v138
	v_mad_u64_u32 v[0:1], s[14:15], s20, v174, 0
	v_mul_lo_u32 v9, s0, v139
	v_mad_u64_u32 v[2:3], s[0:1], s0, v138, 0
	v_mad_u64_u32 v[6:7], s[0:1], s21, v174, v[1:2]
	v_add3_u32 v3, v3, v9, v8
	v_lshlrev_b64 v[2:3], 4, v[2:3]
	v_mov_b32_e32 v1, v6
	v_mov_b32_e32 v6, s9
	v_add_co_u32_e64 v7, s[0:1], s8, v2
	v_add_u32_e32 v8, 0x51, v174
	v_addc_co_u32_e64 v6, s[0:1], v6, v3, s[0:1]
	v_lshlrev_b64 v[2:3], 4, v[4:5]
	v_mad_u64_u32 v[4:5], s[0:1], s20, v8, 0
	v_add_co_u32_e64 v86, s[0:1], v7, v2
	v_mov_b32_e32 v2, v5
	v_addc_co_u32_e64 v87, s[0:1], v6, v3, s[0:1]
	v_mad_u64_u32 v[2:3], s[0:1], s21, v8, v[2:3]
	v_lshlrev_b64 v[0:1], 4, v[0:1]
	v_add_u32_e32 v6, 0xa2, v174
	v_add_co_u32_e64 v0, s[0:1], v86, v0
	v_mov_b32_e32 v5, v2
	v_addc_co_u32_e64 v1, s[0:1], v87, v1, s[0:1]
	v_lshlrev_b64 v[2:3], 4, v[4:5]
	v_mad_u64_u32 v[4:5], s[0:1], s20, v6, 0
	v_add_co_u32_e64 v2, s[0:1], v86, v2
	v_addc_co_u32_e64 v3, s[0:1], v87, v3, s[0:1]
	v_mad_u64_u32 v[5:6], s[0:1], s21, v6, v[5:6]
	v_add_u32_e32 v8, 0xf3, v174
	v_mad_u64_u32 v[6:7], s[0:1], s20, v8, 0
	global_load_dwordx4 v[96:99], v[0:1], off
	global_load_dwordx4 v[120:123], v[2:3], off
	v_lshlrev_b64 v[0:1], 4, v[4:5]
	v_mov_b32_e32 v2, v7
	v_mad_u64_u32 v[2:3], s[0:1], s21, v8, v[2:3]
	v_add_co_u32_e64 v0, s[0:1], v86, v0
	v_mov_b32_e32 v7, v2
	v_lshlrev_b64 v[2:3], 4, v[6:7]
	v_add_u32_e32 v6, 0x144, v174
	v_addc_co_u32_e64 v1, s[0:1], v87, v1, s[0:1]
	v_mad_u64_u32 v[4:5], s[0:1], s20, v6, 0
	v_add_co_u32_e64 v2, s[0:1], v86, v2
	v_addc_co_u32_e64 v3, s[0:1], v87, v3, s[0:1]
	v_mad_u64_u32 v[5:6], s[0:1], s21, v6, v[5:6]
	v_add_u32_e32 v8, 0x195, v174
	v_mad_u64_u32 v[6:7], s[0:1], s20, v8, 0
	global_load_dwordx4 v[112:115], v[0:1], off
	global_load_dwordx4 v[108:111], v[2:3], off
	v_lshlrev_b64 v[0:1], 4, v[4:5]
	v_mov_b32_e32 v2, v7
	v_mad_u64_u32 v[2:3], s[0:1], s21, v8, v[2:3]
	v_add_co_u32_e64 v0, s[0:1], v86, v0
	v_mov_b32_e32 v7, v2
	v_lshlrev_b64 v[2:3], 4, v[6:7]
	v_add_u32_e32 v6, 0x1e6, v174
	v_addc_co_u32_e64 v1, s[0:1], v87, v1, s[0:1]
	;; [unrolled: 16-line block ×6, first 2 shown]
	v_mad_u64_u32 v[4:5], s[0:1], s20, v6, 0
	v_add_co_u32_e64 v2, s[0:1], v86, v2
	v_addc_co_u32_e64 v3, s[0:1], v87, v3, s[0:1]
	v_mad_u64_u32 v[5:6], s[0:1], s21, v6, v[5:6]
	v_add_u32_e32 v8, 0x4bf, v174
	v_mad_u64_u32 v[6:7], s[0:1], s20, v8, 0
	global_load_dwordx4 v[104:107], v[0:1], off
	global_load_dwordx4 v[116:119], v[2:3], off
	v_lshlrev_b64 v[0:1], 4, v[4:5]
	v_mov_b32_e32 v2, v7
	v_mad_u64_u32 v[2:3], s[0:1], s21, v8, v[2:3]
	v_add_u32_e32 v8, 0x510, v174
	v_mad_u64_u32 v[3:4], s[0:1], s20, v8, 0
	v_add_co_u32_e64 v0, s[0:1], v86, v0
	v_mov_b32_e32 v7, v2
	v_mov_b32_e32 v2, v4
	v_addc_co_u32_e64 v1, s[0:1], v87, v1, s[0:1]
	v_lshlrev_b64 v[5:6], 4, v[6:7]
	v_mad_u64_u32 v[7:8], s[0:1], s21, v8, v[2:3]
	v_add_co_u32_e64 v4, s[0:1], v86, v5
	v_addc_co_u32_e64 v5, s[0:1], v87, v6, s[0:1]
	global_load_dwordx4 v[132:135], v[0:1], off
	global_load_dwordx4 v[124:127], v[4:5], off
	v_mov_b32_e32 v4, v7
	v_lshlrev_b64 v[0:1], 4, v[3:4]
                                        ; implicit-def: $vgpr8_vgpr9
                                        ; implicit-def: $vgpr4_vgpr5
	v_add_co_u32_e64 v0, s[0:1], v86, v0
	v_addc_co_u32_e64 v1, s[0:1], v87, v1, s[0:1]
	global_load_dwordx4 v[128:131], v[0:1], off
	v_cmp_gt_u32_e64 s[0:1], 30, v174
                                        ; implicit-def: $vgpr0_vgpr1
	s_and_saveexec_b64 s[8:9], s[0:1]
	s_cbranch_execz .LBB0_14
; %bb.13:
	v_add_u32_e32 v4, 51, v174
	v_add_u32_e32 v6, 0x84, v174
	v_mad_u64_u32 v[0:1], s[0:1], s20, v4, 0
	v_mad_u64_u32 v[2:3], s[0:1], s20, v6, 0
	v_add_u32_e32 v8, 0x126, v174
	v_add_u32_e32 v20, 0x30c, v174
	v_mad_u64_u32 v[4:5], s[0:1], s21, v4, v[1:2]
	v_add_u32_e32 v48, 0x450, v174
	v_add_u32_e32 v50, 0x4a1, v174
	v_mov_b32_e32 v1, v4
	v_lshlrev_b64 v[0:1], 4, v[0:1]
	v_mad_u64_u32 v[3:4], s[0:1], s21, v6, v[3:4]
	v_add_co_u32_e64 v0, s[0:1], v86, v0
	v_add_u32_e32 v6, 0xd5, v174
	v_addc_co_u32_e64 v1, s[0:1], v87, v1, s[0:1]
	v_mad_u64_u32 v[4:5], s[0:1], s20, v6, 0
	v_lshlrev_b64 v[2:3], 4, v[2:3]
	v_add_u32_e32 v80, 0x4f2, v174
	v_add_co_u32_e64 v2, s[0:1], v86, v2
	v_addc_co_u32_e64 v3, s[0:1], v87, v3, s[0:1]
	v_mad_u64_u32 v[5:6], s[0:1], s21, v6, v[5:6]
	v_mad_u64_u32 v[6:7], s[0:1], s20, v8, 0
	global_load_dwordx4 v[28:31], v[0:1], off
	global_load_dwordx4 v[60:63], v[2:3], off
	v_lshlrev_b64 v[0:1], 4, v[4:5]
	v_mov_b32_e32 v2, v7
	v_mad_u64_u32 v[2:3], s[0:1], s21, v8, v[2:3]
	v_add_co_u32_e64 v0, s[0:1], v86, v0
	v_mov_b32_e32 v7, v2
	v_lshlrev_b64 v[2:3], 4, v[6:7]
	v_add_u32_e32 v6, 0x177, v174
	v_addc_co_u32_e64 v1, s[0:1], v87, v1, s[0:1]
	v_mad_u64_u32 v[4:5], s[0:1], s20, v6, 0
	v_add_co_u32_e64 v2, s[0:1], v86, v2
	v_addc_co_u32_e64 v3, s[0:1], v87, v3, s[0:1]
	global_load_dwordx4 v[44:47], v[0:1], off
	global_load_dwordx4 v[36:39], v[2:3], off
	v_mad_u64_u32 v[5:6], s[0:1], s21, v6, v[5:6]
	v_add_u32_e32 v8, 0x1c8, v174
	v_mad_u64_u32 v[6:7], s[0:1], s20, v8, 0
	v_lshlrev_b64 v[0:1], 4, v[4:5]
	v_mov_b32_e32 v2, v7
	v_mad_u64_u32 v[2:3], s[0:1], s21, v8, v[2:3]
	v_add_co_u32_e64 v0, s[0:1], v86, v0
	v_mov_b32_e32 v7, v2
	v_lshlrev_b64 v[2:3], 4, v[6:7]
	v_add_u32_e32 v6, 0x219, v174
	v_addc_co_u32_e64 v1, s[0:1], v87, v1, s[0:1]
	v_mad_u64_u32 v[4:5], s[0:1], s20, v6, 0
	v_add_co_u32_e64 v2, s[0:1], v86, v2
	v_addc_co_u32_e64 v3, s[0:1], v87, v3, s[0:1]
	v_mad_u64_u32 v[5:6], s[0:1], s21, v6, v[5:6]
	v_add_u32_e32 v8, 0x26a, v174
	v_mad_u64_u32 v[6:7], s[0:1], s20, v8, 0
	global_load_dwordx4 v[24:27], v[0:1], off
	global_load_dwordx4 v[16:19], v[2:3], off
	v_lshlrev_b64 v[0:1], 4, v[4:5]
	v_mov_b32_e32 v2, v7
	v_mad_u64_u32 v[2:3], s[0:1], s21, v8, v[2:3]
	v_add_co_u32_e64 v0, s[0:1], v86, v0
	v_mov_b32_e32 v7, v2
	v_lshlrev_b64 v[2:3], 4, v[6:7]
	v_add_u32_e32 v6, 0x2bb, v174
	v_addc_co_u32_e64 v1, s[0:1], v87, v1, s[0:1]
	v_mad_u64_u32 v[4:5], s[0:1], s20, v6, 0
	v_add_co_u32_e64 v2, s[0:1], v86, v2
	v_addc_co_u32_e64 v3, s[0:1], v87, v3, s[0:1]
	v_mad_u64_u32 v[5:6], s[0:1], s21, v6, v[5:6]
	v_mad_u64_u32 v[6:7], s[0:1], s20, v20, 0
	global_load_dwordx4 v[12:15], v[0:1], off
	global_load_dwordx4 v[8:11], v[2:3], off
	v_lshlrev_b64 v[0:1], 4, v[4:5]
	v_mov_b32_e32 v2, v7
	v_mad_u64_u32 v[2:3], s[0:1], s21, v20, v[2:3]
	v_add_co_u32_e64 v20, s[0:1], v86, v0
	v_mov_b32_e32 v7, v2
	v_add_u32_e32 v2, 0x35d, v174
	v_addc_co_u32_e64 v21, s[0:1], v87, v1, s[0:1]
	v_mad_u64_u32 v[22:23], s[0:1], s20, v2, 0
	v_lshlrev_b64 v[0:1], 4, v[6:7]
	v_add_co_u32_e64 v32, s[0:1], v86, v0
	v_mov_b32_e32 v0, v23
	v_addc_co_u32_e64 v33, s[0:1], v87, v1, s[0:1]
	v_mad_u64_u32 v[34:35], s[0:1], s21, v2, v[0:1]
	v_add_u32_e32 v35, 0x3ae, v174
	v_mad_u64_u32 v[40:41], s[0:1], s20, v35, 0
	v_mov_b32_e32 v23, v34
	global_load_dwordx4 v[0:3], v[20:21], off
	global_load_dwordx4 v[4:7], v[32:33], off
	v_lshlrev_b64 v[20:21], 4, v[22:23]
	v_mov_b32_e32 v22, v41
	v_mad_u64_u32 v[22:23], s[0:1], s21, v35, v[22:23]
	v_add_co_u32_e64 v20, s[0:1], v86, v20
	v_mov_b32_e32 v41, v22
	v_add_u32_e32 v34, 0x3ff, v174
	v_addc_co_u32_e64 v21, s[0:1], v87, v21, s[0:1]
	v_lshlrev_b64 v[22:23], 4, v[40:41]
	v_mad_u64_u32 v[40:41], s[0:1], s20, v34, 0
	v_add_co_u32_e64 v32, s[0:1], v86, v22
	v_mov_b32_e32 v22, v41
	v_addc_co_u32_e64 v33, s[0:1], v87, v23, s[0:1]
	v_mad_u64_u32 v[41:42], s[0:1], s21, v34, v[22:23]
	v_mad_u64_u32 v[42:43], s[0:1], s20, v48, 0
	v_lshlrev_b64 v[40:41], 4, v[40:41]
	global_load_dwordx4 v[20:23], v[20:21], off
	s_nop 0
	global_load_dwordx4 v[32:35], v[32:33], off
	s_waitcnt vmcnt(9)
	v_mad_u64_u32 v[48:49], s[0:1], s21, v48, v[43:44]
	v_add_co_u32_e64 v40, s[0:1], v86, v40
	v_addc_co_u32_e64 v41, s[0:1], v87, v41, s[0:1]
	v_mad_u64_u32 v[68:69], s[0:1], s20, v50, 0
	v_mov_b32_e32 v43, v48
	v_lshlrev_b64 v[42:43], 4, v[42:43]
	v_add_co_u32_e64 v48, s[0:1], v86, v42
	v_mov_b32_e32 v42, v69
	v_addc_co_u32_e64 v49, s[0:1], v87, v43, s[0:1]
	v_mad_u64_u32 v[69:70], s[0:1], s21, v50, v[42:43]
	v_mad_u64_u32 v[70:71], s[0:1], s20, v80, 0
	v_lshlrev_b64 v[68:69], 4, v[68:69]
	global_load_dwordx4 v[40:43], v[40:41], off
	s_nop 0
	global_load_dwordx4 v[48:51], v[48:49], off
	v_mad_u64_u32 v[80:81], s[0:1], s21, v80, v[71:72]
	v_add_u32_e32 v81, 0x543, v174
	v_mad_u64_u32 v[84:85], s[0:1], s20, v81, 0
	v_add_co_u32_e64 v68, s[0:1], v86, v68
	v_mov_b32_e32 v71, v80
	v_mov_b32_e32 v80, v85
	v_addc_co_u32_e64 v69, s[0:1], v87, v69, s[0:1]
	v_mad_u64_u32 v[140:141], s[0:1], s21, v81, v[80:81]
	v_lshlrev_b64 v[70:71], 4, v[70:71]
	v_mov_b32_e32 v85, v140
	v_add_co_u32_e64 v80, s[0:1], v86, v70
	v_lshlrev_b64 v[84:85], 4, v[84:85]
	v_addc_co_u32_e64 v81, s[0:1], v87, v71, s[0:1]
	v_add_co_u32_e64 v84, s[0:1], v86, v84
	v_addc_co_u32_e64 v85, s[0:1], v87, v85, s[0:1]
	global_load_dwordx4 v[68:71], v[68:69], off
	s_nop 0
	global_load_dwordx4 v[80:83], v[80:81], off
	s_nop 0
	global_load_dwordx4 v[84:87], v[84:85], off
.LBB0_14:
	s_or_b64 exec, exec, s[8:9]
.LBB0_15:
	s_or_b64 exec, exec, s[6:7]
	s_waitcnt vmcnt(15)
	v_add_f64 v[140:141], v[120:121], v[96:97]
	s_waitcnt vmcnt(0)
	v_add_f64 v[142:143], v[128:129], v[120:121]
	s_mov_b32 s14, 0x370991
	s_mov_b32 s16, 0x75d4884
	;; [unrolled: 1-line block ×4, first 2 shown]
	v_add_f64 v[144:145], v[122:123], -v[130:131]
	v_add_f64 v[146:147], v[124:125], v[112:113]
	v_add_f64 v[140:141], v[112:113], v[140:141]
	v_mul_f64 v[150:151], v[142:143], s[14:15]
	v_mul_f64 v[152:153], v[142:143], s[16:17]
	s_mov_b32 s26, 0x5d8e7cdc
	s_mov_b32 s24, 0x2a9d6da3
	;; [unrolled: 1-line block ×5, first 2 shown]
	v_add_f64 v[140:141], v[108:109], v[140:141]
	s_mov_b32 s28, 0x6ed5f1bb
	s_mov_b32 s38, 0x910ea3b9
	;; [unrolled: 1-line block ×7, first 2 shown]
	v_add_f64 v[140:141], v[100:101], v[140:141]
	s_mov_b32 s7, 0x3fdc86fa
	s_mov_b32 s9, 0x3fb79ee6
	;; [unrolled: 1-line block ×7, first 2 shown]
	v_add_f64 v[140:141], v[88:89], v[140:141]
	s_mov_b32 s46, s24
	v_add_f64 v[148:149], v[114:115], -v[126:127]
	v_mul_f64 v[154:155], v[142:143], s[6:7]
	v_mul_f64 v[156:157], v[142:143], s[8:9]
	;; [unrolled: 1-line block ×5, first 2 shown]
	v_add_f64 v[140:141], v[72:73], v[140:141]
	v_mul_f64 v[142:143], v[142:143], s[42:43]
	v_mul_f64 v[164:165], v[146:147], s[16:17]
	;; [unrolled: 1-line block ×3, first 2 shown]
	v_fma_f64 v[175:176], v[144:145], s[26:27], v[150:151]
	v_fma_f64 v[150:151], v[144:145], s[36:37], v[150:151]
	;; [unrolled: 1-line block ×4, first 2 shown]
	v_add_f64 v[140:141], v[64:65], v[140:141]
	s_mov_b32 s20, 0x7c9e640b
	s_mov_b32 s18, 0xeb564b22
	s_mov_b32 s52, 0x923c349f
	s_mov_b32 s50, 0x6c9a05f6
	s_mov_b32 s56, 0x4363dd80
	s_mov_b32 s58, 0xacd6c6b4
	s_mov_b32 s21, 0x3feca52d
	v_add_f64 v[140:141], v[52:53], v[140:141]
	s_mov_b32 s55, 0xbfeca52d
	s_mov_b32 s19, 0x3fefdd0d
	s_mov_b32 s45, 0xbfefdd0d
	s_mov_b32 s53, 0x3feec746
	s_mov_b32 s31, 0xbfeec746
	s_mov_b32 s51, 0x3fe9895b
	s_mov_b32 s35, 0xbfe9895b
	;; [unrolled: 8-line block ×3, first 2 shown]
	v_add_f64 v[140:141], v[76:77], v[140:141]
	s_mov_b32 s34, s50
	s_mov_b32 s40, s56
	;; [unrolled: 1-line block ×3, first 2 shown]
	v_mul_f64 v[168:169], v[146:147], s[28:29]
	v_mul_f64 v[170:171], v[146:147], s[42:43]
	;; [unrolled: 1-line block ×3, first 2 shown]
	v_fma_f64 v[179:180], v[144:145], s[20:21], v[154:155]
	v_add_f64 v[140:141], v[92:93], v[140:141]
	v_fma_f64 v[154:155], v[144:145], s[54:55], v[154:155]
	v_fma_f64 v[181:182], v[144:145], s[18:19], v[156:157]
	;; [unrolled: 1-line block ×7, first 2 shown]
	v_add_f64 v[140:141], v[104:105], v[140:141]
	v_fma_f64 v[187:188], v[144:145], s[56:57], v[162:163]
	v_fma_f64 v[162:163], v[144:145], s[40:41], v[162:163]
	v_fma_f64 v[189:190], v[144:145], s[58:59], v[142:143]
	v_fma_f64 v[142:143], v[144:145], s[48:49], v[142:143]
	v_fma_f64 v[144:145], v[148:149], s[24:25], v[164:165]
	v_fma_f64 v[164:165], v[148:149], s[46:47], v[164:165]
	v_fma_f64 v[191:192], v[148:149], s[18:19], v[166:167]
	v_add_f64 v[140:141], v[116:117], v[140:141]
	v_fma_f64 v[166:167], v[148:149], s[44:45], v[166:167]
	v_add_f64 v[150:151], v[96:97], v[150:151]
	v_add_f64 v[152:153], v[96:97], v[152:153]
	v_fma_f64 v[193:194], v[148:149], s[50:51], v[168:169]
	v_fma_f64 v[168:169], v[148:149], s[34:35], v[168:169]
	v_add_f64 v[177:178], v[96:97], v[177:178]
	v_add_f64 v[154:155], v[96:97], v[154:155]
	v_add_f64 v[140:141], v[132:133], v[140:141]
	v_add_f64 v[156:157], v[96:97], v[156:157]
	v_add_f64 v[183:184], v[96:97], v[183:184]
	v_add_f64 v[150:151], v[164:165], v[150:151]
	v_fma_f64 v[164:165], v[148:149], s[58:59], v[170:171]
	v_add_f64 v[152:153], v[166:167], v[152:153]
	v_fma_f64 v[166:167], v[148:149], s[48:49], v[170:171]
	v_fma_f64 v[170:171], v[148:149], s[40:41], v[172:173]
	v_add_f64 v[140:141], v[124:125], v[140:141]
	v_add_f64 v[175:176], v[96:97], v[175:176]
	;; [unrolled: 1-line block ×14, first 2 shown]
	v_mul_f64 v[168:169], v[146:147], s[22:23]
	v_fma_f64 v[172:173], v[148:149], s[56:57], v[172:173]
	v_mul_f64 v[177:178], v[146:147], s[6:7]
	v_add_f64 v[156:157], v[166:167], v[156:157]
	v_add_f64 v[166:167], v[170:171], v[183:184]
	v_add_f64 v[170:171], v[132:133], v[108:109]
	v_add_f64 v[144:145], v[144:145], v[175:176]
	v_add_f64 v[175:176], v[193:194], v[179:180]
	v_add_f64 v[164:165], v[164:165], v[181:182]
	v_mul_f64 v[146:147], v[146:147], s[14:15]
	v_fma_f64 v[179:180], v[148:149], s[30:31], v[168:169]
	v_add_f64 v[158:159], v[172:173], v[158:159]
	v_fma_f64 v[168:169], v[148:149], s[52:53], v[168:169]
	v_fma_f64 v[172:173], v[148:149], s[54:55], v[177:178]
	v_add_f64 v[181:182], v[110:111], -v[134:135]
	v_mul_f64 v[183:184], v[170:171], s[6:7]
	v_fma_f64 v[177:178], v[148:149], s[20:21], v[177:178]
	v_fma_f64 v[191:192], v[148:149], s[36:37], v[146:147]
	v_add_f64 v[179:180], v[179:180], v[185:186]
	v_fma_f64 v[146:147], v[148:149], s[26:27], v[146:147]
	v_add_f64 v[148:149], v[168:169], v[160:161]
	v_mul_f64 v[160:161], v[170:171], s[28:29]
	v_add_f64 v[168:169], v[172:173], v[187:188]
	v_fma_f64 v[172:173], v[181:182], s[20:21], v[183:184]
	v_mul_f64 v[185:186], v[170:171], s[42:43]
	v_add_f64 v[162:163], v[177:178], v[162:163]
	v_add_f64 v[177:178], v[191:192], v[189:190]
	;; [unrolled: 1-line block ×3, first 2 shown]
	v_fma_f64 v[146:147], v[181:182], s[54:55], v[183:184]
	v_fma_f64 v[183:184], v[181:182], s[50:51], v[160:161]
	v_mul_f64 v[187:188], v[170:171], s[22:23]
	v_fma_f64 v[160:161], v[181:182], s[34:35], v[160:161]
	v_add_f64 v[144:145], v[172:173], v[144:145]
	v_mul_f64 v[172:173], v[170:171], s[16:17]
	v_fma_f64 v[189:190], v[181:182], s[48:49], v[185:186]
	v_fma_f64 v[185:186], v[181:182], s[58:59], v[185:186]
	v_add_f64 v[146:147], v[146:147], v[150:151]
	v_add_f64 v[140:141], v[183:184], v[140:141]
	v_fma_f64 v[150:151], v[181:182], s[30:31], v[187:188]
	v_add_f64 v[152:153], v[160:161], v[152:153]
	v_fma_f64 v[160:161], v[181:182], s[52:53], v[187:188]
	v_fma_f64 v[183:184], v[181:182], s[46:47], v[172:173]
	;; [unrolled: 1-line block ×3, first 2 shown]
	v_add_f64 v[154:155], v[185:186], v[154:155]
	v_mul_f64 v[185:186], v[170:171], s[14:15]
	v_add_f64 v[175:176], v[189:190], v[175:176]
	v_add_f64 v[150:151], v[150:151], v[164:165]
	v_mul_f64 v[164:165], v[170:171], s[8:9]
	v_add_f64 v[156:157], v[160:161], v[156:157]
	v_add_f64 v[160:161], v[183:184], v[166:167]
	;; [unrolled: 1-line block ×3, first 2 shown]
	v_mul_f64 v[170:171], v[170:171], s[38:39]
	v_add_f64 v[158:159], v[172:173], v[158:159]
	v_fma_f64 v[172:173], v[181:182], s[36:37], v[185:186]
	v_fma_f64 v[183:184], v[181:182], s[26:27], v[185:186]
	;; [unrolled: 1-line block ×4, first 2 shown]
	v_add_f64 v[187:188], v[102:103], -v[118:119]
	v_mul_f64 v[189:190], v[166:167], s[8:9]
	v_fma_f64 v[191:192], v[181:182], s[56:57], v[170:171]
	v_fma_f64 v[170:171], v[181:182], s[40:41], v[170:171]
	v_add_f64 v[148:149], v[172:173], v[148:149]
	v_mul_f64 v[172:173], v[166:167], s[42:43]
	v_add_f64 v[179:180], v[183:184], v[179:180]
	v_add_f64 v[168:169], v[185:186], v[168:169]
	;; [unrolled: 1-line block ×3, first 2 shown]
	v_fma_f64 v[164:165], v[187:188], s[18:19], v[189:190]
	v_mul_f64 v[181:182], v[166:167], s[22:23]
	v_add_f64 v[142:143], v[170:171], v[142:143]
	v_fma_f64 v[170:171], v[187:188], s[44:45], v[189:190]
	v_fma_f64 v[183:184], v[187:188], s[58:59], v[172:173]
	v_mul_f64 v[185:186], v[166:167], s[14:15]
	v_fma_f64 v[172:173], v[187:188], s[48:49], v[172:173]
	v_add_f64 v[177:178], v[191:192], v[177:178]
	v_add_f64 v[144:145], v[164:165], v[144:145]
	v_mul_f64 v[164:165], v[166:167], s[6:7]
	v_fma_f64 v[189:190], v[187:188], s[30:31], v[181:182]
	v_fma_f64 v[181:182], v[187:188], s[52:53], v[181:182]
	v_add_f64 v[146:147], v[170:171], v[146:147]
	v_fma_f64 v[170:171], v[187:188], s[36:37], v[185:186]
	v_add_f64 v[152:153], v[172:173], v[152:153]
	v_fma_f64 v[172:173], v[187:188], s[26:27], v[185:186]
	v_add_f64 v[140:141], v[183:184], v[140:141]
	v_fma_f64 v[183:184], v[187:188], s[20:21], v[164:165]
	v_fma_f64 v[164:165], v[187:188], s[54:55], v[164:165]
	v_add_f64 v[154:155], v[181:182], v[154:155]
	v_mul_f64 v[181:182], v[166:167], s[38:39]
	v_add_f64 v[150:151], v[170:171], v[150:151]
	v_mul_f64 v[170:171], v[166:167], s[28:29]
	v_add_f64 v[156:157], v[172:173], v[156:157]
	v_add_f64 v[172:173], v[104:105], v[88:89]
	;; [unrolled: 1-line block ×4, first 2 shown]
	v_mul_f64 v[166:167], v[166:167], s[16:17]
	v_fma_f64 v[183:184], v[187:188], s[56:57], v[181:182]
	v_add_f64 v[158:159], v[164:165], v[158:159]
	v_fma_f64 v[164:165], v[187:188], s[40:41], v[181:182]
	v_fma_f64 v[181:182], v[187:188], s[34:35], v[170:171]
	;; [unrolled: 1-line block ×3, first 2 shown]
	v_add_f64 v[185:186], v[90:91], -v[106:107]
	v_mul_f64 v[189:190], v[172:173], s[22:23]
	v_fma_f64 v[191:192], v[187:188], s[46:47], v[166:167]
	v_fma_f64 v[166:167], v[187:188], s[24:25], v[166:167]
	v_add_f64 v[179:180], v[183:184], v[179:180]
	v_add_f64 v[148:149], v[164:165], v[148:149]
	v_mul_f64 v[164:165], v[172:173], s[38:39]
	v_add_f64 v[168:169], v[181:182], v[168:169]
	v_add_f64 v[162:163], v[170:171], v[162:163]
	v_fma_f64 v[170:171], v[185:186], s[52:53], v[189:190]
	v_mul_f64 v[181:182], v[172:173], s[16:17]
	v_add_f64 v[142:143], v[166:167], v[142:143]
	v_fma_f64 v[166:167], v[185:186], s[30:31], v[189:190]
	v_mul_f64 v[187:188], v[172:173], s[6:7]
	v_fma_f64 v[183:184], v[185:186], s[40:41], v[164:165]
	v_fma_f64 v[164:165], v[185:186], s[56:57], v[164:165]
	v_add_f64 v[177:178], v[191:192], v[177:178]
	v_add_f64 v[144:145], v[170:171], v[144:145]
	v_mul_f64 v[170:171], v[172:173], s[42:43]
	v_fma_f64 v[189:190], v[185:186], s[46:47], v[181:182]
	v_fma_f64 v[181:182], v[185:186], s[24:25], v[181:182]
	v_add_f64 v[146:147], v[166:167], v[146:147]
	v_add_f64 v[140:141], v[183:184], v[140:141]
	v_fma_f64 v[166:167], v[185:186], s[20:21], v[187:188]
	v_add_f64 v[152:153], v[164:165], v[152:153]
	v_fma_f64 v[164:165], v[185:186], s[54:55], v[187:188]
	v_fma_f64 v[183:184], v[185:186], s[58:59], v[170:171]
	;; [unrolled: 1-line block ×3, first 2 shown]
	v_add_f64 v[154:155], v[181:182], v[154:155]
	v_mul_f64 v[181:182], v[172:173], s[8:9]
	v_add_f64 v[175:176], v[189:190], v[175:176]
	v_add_f64 v[150:151], v[166:167], v[150:151]
	v_mul_f64 v[166:167], v[172:173], s[14:15]
	v_add_f64 v[156:157], v[164:165], v[156:157]
	v_add_f64 v[164:165], v[92:93], v[72:73]
	v_mul_f64 v[172:173], v[172:173], s[28:29]
	v_add_f64 v[158:159], v[170:171], v[158:159]
	v_fma_f64 v[170:171], v[185:186], s[18:19], v[181:182]
	v_add_f64 v[160:161], v[183:184], v[160:161]
	v_fma_f64 v[183:184], v[185:186], s[44:45], v[181:182]
	v_fma_f64 v[181:182], v[185:186], s[26:27], v[166:167]
	;; [unrolled: 1-line block ×3, first 2 shown]
	v_add_f64 v[187:188], v[74:75], -v[94:95]
	v_mul_f64 v[189:190], v[164:165], s[28:29]
	v_fma_f64 v[191:192], v[185:186], s[50:51], v[172:173]
	v_fma_f64 v[172:173], v[185:186], s[34:35], v[172:173]
	v_add_f64 v[148:149], v[170:171], v[148:149]
	v_mul_f64 v[170:171], v[164:165], s[22:23]
	v_add_f64 v[179:180], v[183:184], v[179:180]
	v_add_f64 v[162:163], v[166:167], v[162:163]
	v_mul_f64 v[183:184], v[164:165], s[38:39]
	v_fma_f64 v[166:167], v[187:188], s[50:51], v[189:190]
	v_add_f64 v[168:169], v[181:182], v[168:169]
	v_add_f64 v[142:143], v[172:173], v[142:143]
	v_fma_f64 v[172:173], v[187:188], s[34:35], v[189:190]
	v_fma_f64 v[185:186], v[187:188], s[30:31], v[170:171]
	;; [unrolled: 1-line block ×3, first 2 shown]
	v_mul_f64 v[181:182], v[164:165], s[14:15]
	v_add_f64 v[177:178], v[191:192], v[177:178]
	v_add_f64 v[144:145], v[166:167], v[144:145]
	v_mul_f64 v[166:167], v[164:165], s[8:9]
	s_movk_i32 s0, 0x88
	v_add_f64 v[146:147], v[172:173], v[146:147]
	v_fma_f64 v[172:173], v[187:188], s[56:57], v[183:184]
	v_add_f64 v[152:153], v[170:171], v[152:153]
	v_fma_f64 v[170:171], v[187:188], s[40:41], v[183:184]
	v_fma_f64 v[189:190], v[187:188], s[26:27], v[181:182]
	;; [unrolled: 1-line block ×5, first 2 shown]
	v_add_f64 v[140:141], v[185:186], v[140:141]
	v_add_f64 v[150:151], v[172:173], v[150:151]
	v_mul_f64 v[172:173], v[164:165], s[42:43]
	v_add_f64 v[156:157], v[170:171], v[156:157]
	v_add_f64 v[170:171], v[76:77], v[64:65]
	v_add_f64 v[154:155], v[181:182], v[154:155]
	v_mul_f64 v[181:182], v[164:165], s[16:17]
	v_mul_f64 v[164:165], v[164:165], s[6:7]
	v_add_f64 v[175:176], v[189:190], v[175:176]
	v_add_f64 v[158:159], v[166:167], v[158:159]
	v_fma_f64 v[166:167], v[187:188], s[58:59], v[172:173]
	v_fma_f64 v[172:173], v[187:188], s[48:49], v[172:173]
	v_add_f64 v[185:186], v[66:67], -v[78:79]
	v_mul_f64 v[189:190], v[170:171], s[38:39]
	v_add_f64 v[160:161], v[183:184], v[160:161]
	v_fma_f64 v[183:184], v[187:188], s[24:25], v[181:182]
	v_fma_f64 v[181:182], v[187:188], s[46:47], v[181:182]
	v_fma_f64 v[191:192], v[187:188], s[54:55], v[164:165]
	v_fma_f64 v[164:165], v[187:188], s[20:21], v[164:165]
	v_add_f64 v[166:167], v[166:167], v[168:169]
	v_mul_f64 v[168:169], v[170:171], s[6:7]
	v_add_f64 v[162:163], v[172:173], v[162:163]
	v_fma_f64 v[172:173], v[185:186], s[56:57], v[189:190]
	v_add_f64 v[179:180], v[183:184], v[179:180]
	v_add_f64 v[148:149], v[181:182], v[148:149]
	v_mul_f64 v[181:182], v[170:171], s[8:9]
	v_fma_f64 v[183:184], v[185:186], s[40:41], v[189:190]
	v_add_f64 v[142:143], v[164:165], v[142:143]
	v_mul_f64 v[164:165], v[170:171], s[28:29]
	v_fma_f64 v[187:188], v[185:186], s[54:55], v[168:169]
	v_fma_f64 v[168:169], v[185:186], s[20:21], v[168:169]
	v_add_f64 v[144:145], v[172:173], v[144:145]
	v_mul_f64 v[172:173], v[170:171], s[14:15]
	v_fma_f64 v[189:190], v[185:186], s[18:19], v[181:182]
	v_add_f64 v[146:147], v[183:184], v[146:147]
	v_fma_f64 v[181:182], v[185:186], s[44:45], v[181:182]
	v_fma_f64 v[183:184], v[185:186], s[34:35], v[164:165]
	;; [unrolled: 1-line block ×3, first 2 shown]
	v_add_f64 v[140:141], v[187:188], v[140:141]
	v_add_f64 v[152:153], v[168:169], v[152:153]
	v_fma_f64 v[168:169], v[185:186], s[26:27], v[172:173]
	v_mul_f64 v[187:188], v[170:171], s[42:43]
	v_fma_f64 v[172:173], v[185:186], s[36:37], v[172:173]
	v_add_f64 v[154:155], v[181:182], v[154:155]
	v_mul_f64 v[181:182], v[170:171], s[16:17]
	v_add_f64 v[156:157], v[164:165], v[156:157]
	v_add_f64 v[164:165], v[56:57], v[52:53]
	;; [unrolled: 1-line block ×4, first 2 shown]
	v_fma_f64 v[168:169], v[185:186], s[58:59], v[187:188]
	v_fma_f64 v[183:184], v[185:186], s[48:49], v[187:188]
	v_mul_f64 v[170:171], v[170:171], s[22:23]
	v_add_f64 v[175:176], v[189:190], v[175:176]
	v_add_f64 v[158:159], v[172:173], v[158:159]
	v_fma_f64 v[172:173], v[185:186], s[46:47], v[181:182]
	v_fma_f64 v[181:182], v[185:186], s[24:25], v[181:182]
	v_add_f64 v[187:188], v[54:55], -v[58:59]
	v_mul_f64 v[189:190], v[164:165], s[42:43]
	v_add_f64 v[177:178], v[191:192], v[177:178]
	v_add_f64 v[168:169], v[168:169], v[179:180]
	;; [unrolled: 1-line block ×3, first 2 shown]
	v_fma_f64 v[179:180], v[185:186], s[52:53], v[170:171]
	v_mul_f64 v[183:184], v[164:165], s[14:15]
	v_add_f64 v[166:167], v[172:173], v[166:167]
	v_add_f64 v[162:163], v[181:182], v[162:163]
	v_fma_f64 v[170:171], v[185:186], s[30:31], v[170:171]
	v_fma_f64 v[172:173], v[187:188], s[58:59], v[189:190]
	v_mul_f64 v[181:182], v[164:165], s[38:39]
	v_fma_f64 v[185:186], v[187:188], s[48:49], v[189:190]
	v_add_f64 v[177:178], v[179:180], v[177:178]
	v_fma_f64 v[179:180], v[187:188], s[36:37], v[183:184]
	v_fma_f64 v[183:184], v[187:188], s[26:27], v[183:184]
	v_mul_f64 v[189:190], v[164:165], s[16:17]
	v_add_f64 v[142:143], v[170:171], v[142:143]
	v_add_f64 v[144:145], v[172:173], v[144:145]
	v_fma_f64 v[170:171], v[187:188], s[56:57], v[181:182]
	v_fma_f64 v[172:173], v[187:188], s[40:41], v[181:182]
	v_add_f64 v[146:147], v[185:186], v[146:147]
	v_add_f64 v[140:141], v[179:180], v[140:141]
	;; [unrolled: 1-line block ×3, first 2 shown]
	v_fma_f64 v[179:180], v[187:188], s[46:47], v[189:190]
	v_mul_f64 v[183:184], v[164:165], s[28:29]
	v_fma_f64 v[181:182], v[187:188], s[24:25], v[189:190]
	v_add_f64 v[170:171], v[170:171], v[175:176]
	v_mul_f64 v[175:176], v[164:165], s[6:7]
	v_add_f64 v[154:155], v[172:173], v[154:155]
	v_mul_f64 v[172:173], v[164:165], s[22:23]
	v_mul_f64 v[164:165], v[164:165], s[8:9]
	v_add_f64 v[150:151], v[179:180], v[150:151]
	v_fma_f64 v[179:180], v[187:188], s[50:51], v[183:184]
	v_add_f64 v[156:157], v[181:182], v[156:157]
	v_fma_f64 v[181:182], v[187:188], s[34:35], v[183:184]
	v_fma_f64 v[183:184], v[187:188], s[54:55], v[175:176]
	;; [unrolled: 1-line block ×7, first 2 shown]
	v_add_f64 v[160:161], v[179:180], v[160:161]
	v_add_f64 v[158:159], v[181:182], v[158:159]
	;; [unrolled: 1-line block ×8, first 2 shown]
	v_mad_u32_u24 v175, v174, s0, 0
	v_cmp_gt_u32_e64 s[0:1], 30, v174
	ds_write2_b64 v175, v[96:97], v[144:145] offset1:1
	ds_write2_b64 v175, v[140:141], v[170:171] offset0:2 offset1:3
	ds_write2_b64 v175, v[150:151], v[160:161] offset0:4 offset1:5
	;; [unrolled: 1-line block ×7, first 2 shown]
	ds_write_b64 v175, v[146:147] offset:128
	s_and_saveexec_b64 s[60:61], s[0:1]
	s_cbranch_execz .LBB0_17
; %bb.16:
	v_add_f64 v[164:165], v[62:63], -v[86:87]
	v_add_f64 v[162:163], v[46:47], -v[82:83]
	v_add_f64 v[156:157], v[84:85], v[60:61]
	v_add_f64 v[160:161], v[38:39], -v[70:71]
	v_add_f64 v[154:155], v[80:81], v[44:45]
	;; [unrolled: 2-line block ×3, first 2 shown]
	v_add_f64 v[152:153], v[18:19], -v[42:43]
	v_mul_f64 v[158:159], v[164:165], s[48:49]
	v_mul_f64 v[170:171], v[162:163], s[26:27]
	v_add_f64 v[150:151], v[14:15], -v[34:35]
	v_mul_f64 v[178:179], v[160:161], s[40:41]
	v_add_f64 v[148:149], v[40:41], v[16:17]
	v_mul_f64 v[188:189], v[168:169], s[24:25]
	v_add_f64 v[146:147], v[10:11], -v[22:23]
	v_add_f64 v[144:145], v[32:33], v[12:13]
	v_fma_f64 v[172:173], v[156:157], s[42:43], v[158:159]
	v_fma_f64 v[176:177], v[156:157], s[42:43], -v[158:159]
	v_fma_f64 v[180:181], v[154:155], s[14:15], v[170:171]
	v_fma_f64 v[170:171], v[154:155], s[14:15], -v[170:171]
	v_add_f64 v[158:159], v[48:49], v[24:25]
	v_fma_f64 v[190:191], v[166:167], s[38:39], v[178:179]
	v_fma_f64 v[178:179], v[166:167], s[38:39], -v[178:179]
	v_mul_f64 v[186:187], v[150:151], s[20:21]
	v_add_f64 v[172:173], v[28:29], v[172:173]
	v_add_f64 v[176:177], v[28:29], v[176:177]
	v_add_f64 v[142:143], v[2:3], -v[6:7]
	v_add_f64 v[140:141], v[20:21], v[8:9]
	v_fma_f64 v[196:197], v[158:159], s[16:17], v[188:189]
	v_fma_f64 v[188:189], v[158:159], s[16:17], -v[188:189]
	v_mul_f64 v[184:185], v[146:147], s[30:31]
	v_fma_f64 v[208:209], v[144:145], s[6:7], v[186:187]
	v_add_f64 v[172:173], v[180:181], v[172:173]
	v_add_f64 v[170:171], v[170:171], v[176:177]
	v_mul_f64 v[176:177], v[152:153], s[34:35]
	v_fma_f64 v[186:187], v[144:145], s[6:7], -v[186:187]
	v_add_f64 v[96:97], v[4:5], v[0:1]
	v_mul_f64 v[182:183], v[142:143], s[18:19]
	v_mul_f64 v[206:207], v[164:165], s[34:35]
	;; [unrolled: 1-line block ×3, first 2 shown]
	v_add_f64 v[172:173], v[190:191], v[172:173]
	v_add_f64 v[170:171], v[178:179], v[170:171]
	v_fma_f64 v[202:203], v[148:149], s[28:29], v[176:177]
	v_fma_f64 v[176:177], v[148:149], s[28:29], -v[176:177]
	v_mul_f64 v[204:205], v[162:163], s[52:53]
	v_mul_f64 v[198:199], v[160:161], s[44:45]
	v_fma_f64 v[220:221], v[156:157], s[28:29], v[206:207]
	v_fma_f64 v[206:207], v[156:157], s[28:29], -v[206:207]
	v_add_f64 v[172:173], v[196:197], v[172:173]
	v_add_f64 v[170:171], v[188:189], v[170:171]
	v_mul_f64 v[188:189], v[164:165], s[40:41]
	v_mul_f64 v[196:197], v[160:161], s[36:37]
	;; [unrolled: 1-line block ×3, first 2 shown]
	v_fma_f64 v[218:219], v[166:167], s[8:9], v[198:199]
	v_fma_f64 v[198:199], v[166:167], s[8:9], -v[198:199]
	v_mul_f64 v[178:179], v[152:153], s[36:37]
	v_add_f64 v[172:173], v[202:203], v[172:173]
	v_add_f64 v[170:171], v[176:177], v[170:171]
	v_fma_f64 v[202:203], v[140:141], s[22:23], v[184:185]
	v_fma_f64 v[184:185], v[140:141], s[22:23], -v[184:185]
	v_fma_f64 v[176:177], v[96:97], s[8:9], v[182:183]
	v_fma_f64 v[182:183], v[96:97], s[8:9], -v[182:183]
	;; [unrolled: 2-line block ×3, first 2 shown]
	v_add_f64 v[172:173], v[208:209], v[172:173]
	v_add_f64 v[170:171], v[186:187], v[170:171]
	v_fma_f64 v[216:217], v[158:159], s[28:29], v[190:191]
	v_mul_f64 v[194:195], v[150:151], s[48:49]
	v_fma_f64 v[208:209], v[148:149], s[14:15], v[178:179]
	v_fma_f64 v[178:179], v[148:149], s[14:15], -v[178:179]
	v_add_f64 v[214:215], v[28:29], v[214:215]
	v_add_f64 v[188:189], v[28:29], v[188:189]
	;; [unrolled: 1-line block ×4, first 2 shown]
	v_fma_f64 v[202:203], v[154:155], s[6:7], v[200:201]
	v_fma_f64 v[200:201], v[154:155], s[6:7], -v[200:201]
	v_mul_f64 v[192:193], v[146:147], s[24:25]
	v_fma_f64 v[186:187], v[144:145], s[42:43], v[194:195]
	v_fma_f64 v[194:195], v[144:145], s[42:43], -v[194:195]
	v_mul_f64 v[180:181], v[142:143], s[30:31]
	v_add_f64 v[170:171], v[176:177], v[172:173]
	v_add_f64 v[172:173], v[182:183], v[184:185]
	v_fma_f64 v[176:177], v[154:155], s[22:23], v[204:205]
	v_add_f64 v[182:183], v[28:29], v[220:221]
	v_add_f64 v[184:185], v[202:203], v[214:215]
	;; [unrolled: 1-line block ×3, first 2 shown]
	v_fma_f64 v[200:201], v[154:155], s[22:23], -v[204:205]
	v_add_f64 v[202:203], v[28:29], v[206:207]
	v_mul_f64 v[204:205], v[168:169], s[40:41]
	v_fma_f64 v[206:207], v[166:167], s[14:15], v[196:197]
	v_fma_f64 v[212:213], v[140:141], s[16:17], v[192:193]
	v_add_f64 v[176:177], v[176:177], v[182:183]
	v_add_f64 v[182:183], v[218:219], v[184:185]
	v_fma_f64 v[184:185], v[158:159], s[28:29], -v[190:191]
	v_add_f64 v[188:189], v[198:199], v[188:189]
	v_fma_f64 v[190:191], v[166:167], s[14:15], -v[196:197]
	v_add_f64 v[196:197], v[200:201], v[202:203]
	v_mul_f64 v[198:199], v[152:153], s[18:19]
	v_fma_f64 v[200:201], v[158:159], s[38:39], v[204:205]
	v_add_f64 v[176:177], v[206:207], v[176:177]
	v_add_f64 v[182:183], v[216:217], v[182:183]
	v_fma_f64 v[210:211], v[96:97], s[22:23], v[180:181]
	v_add_f64 v[184:185], v[184:185], v[188:189]
	v_fma_f64 v[188:189], v[158:159], s[38:39], -v[204:205]
	v_add_f64 v[190:191], v[190:191], v[196:197]
	v_mul_f64 v[196:197], v[150:151], s[46:47]
	v_fma_f64 v[202:203], v[148:149], s[8:9], v[198:199]
	v_add_f64 v[176:177], v[200:201], v[176:177]
	v_add_f64 v[182:183], v[208:209], v[182:183]
	v_fma_f64 v[180:181], v[96:97], s[22:23], -v[180:181]
	v_add_f64 v[178:179], v[178:179], v[184:185]
	v_fma_f64 v[184:185], v[148:149], s[8:9], -v[198:199]
	v_add_f64 v[188:189], v[188:189], v[190:191]
	v_mul_f64 v[190:191], v[146:147], s[48:49]
	v_fma_f64 v[198:199], v[144:145], s[16:17], v[196:197]
	v_add_f64 v[176:177], v[202:203], v[176:177]
	v_add_f64 v[182:183], v[186:187], v[182:183]
	v_fma_f64 v[186:187], v[140:141], s[16:17], -v[192:193]
	v_add_f64 v[178:179], v[194:195], v[178:179]
	v_fma_f64 v[192:193], v[144:145], s[16:17], -v[196:197]
	v_add_f64 v[184:185], v[184:185], v[188:189]
	v_mul_f64 v[188:189], v[142:143], s[20:21]
	v_fma_f64 v[194:195], v[140:141], s[42:43], v[190:191]
	v_add_f64 v[176:177], v[198:199], v[176:177]
	v_mul_f64 v[196:197], v[164:165], s[30:31]
	v_add_f64 v[182:183], v[212:213], v[182:183]
	v_add_f64 v[178:179], v[186:187], v[178:179]
	v_mul_f64 v[200:201], v[164:165], s[44:45]
	v_add_f64 v[184:185], v[192:193], v[184:185]
	v_fma_f64 v[186:187], v[96:97], s[6:7], v[188:189]
	v_mul_f64 v[192:193], v[162:163], s[56:57]
	v_add_f64 v[176:177], v[194:195], v[176:177]
	v_fma_f64 v[194:195], v[156:157], s[22:23], v[196:197]
	v_fma_f64 v[196:197], v[156:157], s[22:23], -v[196:197]
	v_add_f64 v[178:179], v[180:181], v[178:179]
	v_mul_f64 v[180:181], v[160:161], s[24:25]
	v_add_f64 v[182:183], v[210:211], v[182:183]
	v_mul_f64 v[202:203], v[168:169], s[54:55]
	v_mul_f64 v[208:209], v[162:163], s[48:49]
	v_add_f64 v[176:177], v[186:187], v[176:177]
	v_fma_f64 v[186:187], v[154:155], s[38:39], v[192:193]
	v_add_f64 v[194:195], v[28:29], v[194:195]
	v_fma_f64 v[210:211], v[156:157], s[8:9], v[200:201]
	v_fma_f64 v[204:205], v[166:167], s[16:17], v[180:181]
	v_fma_f64 v[192:193], v[154:155], s[38:39], -v[192:193]
	v_add_f64 v[196:197], v[28:29], v[196:197]
	v_mul_f64 v[206:207], v[152:153], s[48:49]
	v_fma_f64 v[212:213], v[158:159], s[6:7], v[202:203]
	v_mul_f64 v[214:215], v[160:161], s[52:53]
	v_add_f64 v[186:187], v[186:187], v[194:195]
	v_fma_f64 v[216:217], v[154:155], s[42:43], v[208:209]
	v_add_f64 v[210:211], v[28:29], v[210:211]
	v_fma_f64 v[180:181], v[166:167], s[16:17], -v[180:181]
	v_add_f64 v[192:193], v[192:193], v[196:197]
	v_fma_f64 v[218:219], v[148:149], s[42:43], v[206:207]
	v_fma_f64 v[202:203], v[158:159], s[6:7], -v[202:203]
	v_fma_f64 v[220:221], v[166:167], s[22:23], v[214:215]
	v_add_f64 v[186:187], v[204:205], v[186:187]
	v_mul_f64 v[204:205], v[150:151], s[18:19]
	v_add_f64 v[210:211], v[216:217], v[210:211]
	v_fma_f64 v[200:201], v[156:157], s[8:9], -v[200:201]
	v_add_f64 v[180:181], v[180:181], v[192:193]
	v_fma_f64 v[190:191], v[140:141], s[42:43], -v[190:191]
	v_mul_f64 v[198:199], v[146:147], s[36:37]
	v_fma_f64 v[192:193], v[148:149], s[42:43], -v[206:207]
	v_add_f64 v[186:187], v[212:213], v[186:187]
	v_mul_f64 v[212:213], v[168:169], s[26:27]
	v_fma_f64 v[196:197], v[144:145], s[8:9], v[204:205]
	v_mul_f64 v[206:207], v[152:153], s[54:55]
	v_add_f64 v[210:211], v[220:221], v[210:211]
	v_fma_f64 v[208:209], v[154:155], s[42:43], -v[208:209]
	v_add_f64 v[200:201], v[28:29], v[200:201]
	v_add_f64 v[180:181], v[202:203], v[180:181]
	;; [unrolled: 1-line block ×3, first 2 shown]
	v_fma_f64 v[216:217], v[158:159], s[14:15], v[212:213]
	v_fma_f64 v[188:189], v[96:97], s[6:7], -v[188:189]
	v_add_f64 v[184:185], v[190:191], v[184:185]
	v_mul_f64 v[190:191], v[142:143], s[34:35]
	v_fma_f64 v[194:195], v[140:141], s[14:15], v[198:199]
	v_mul_f64 v[202:203], v[150:151], s[40:41]
	v_fma_f64 v[214:215], v[166:167], s[22:23], -v[214:215]
	v_add_f64 v[186:187], v[196:197], v[186:187]
	v_fma_f64 v[196:197], v[144:145], s[8:9], -v[204:205]
	v_fma_f64 v[204:205], v[148:149], s[6:7], v[206:207]
	v_add_f64 v[210:211], v[216:217], v[210:211]
	v_add_f64 v[200:201], v[208:209], v[200:201]
	;; [unrolled: 1-line block ×4, first 2 shown]
	v_fma_f64 v[188:189], v[96:97], s[28:29], v[190:191]
	v_add_f64 v[186:187], v[194:195], v[186:187]
	v_fma_f64 v[192:193], v[140:141], s[14:15], -v[198:199]
	v_mul_f64 v[194:195], v[146:147], s[50:51]
	v_fma_f64 v[198:199], v[144:145], s[38:39], v[202:203]
	v_add_f64 v[204:205], v[204:205], v[210:211]
	v_fma_f64 v[208:209], v[158:159], s[14:15], -v[212:213]
	v_add_f64 v[200:201], v[214:215], v[200:201]
	v_add_f64 v[180:181], v[196:197], v[180:181]
	v_mul_f64 v[212:213], v[164:165], s[54:55]
	v_fma_f64 v[190:191], v[96:97], s[28:29], -v[190:191]
	v_mul_f64 v[196:197], v[142:143], s[24:25]
	v_fma_f64 v[210:211], v[140:141], s[28:29], v[194:195]
	v_add_f64 v[198:199], v[198:199], v[204:205]
	v_fma_f64 v[204:205], v[148:149], s[6:7], -v[206:207]
	v_add_f64 v[200:201], v[208:209], v[200:201]
	v_add_f64 v[180:181], v[192:193], v[180:181]
	;; [unrolled: 1-line block ×3, first 2 shown]
	v_mul_f64 v[188:189], v[162:163], s[34:35]
	v_fma_f64 v[206:207], v[156:157], s[6:7], v[212:213]
	v_fma_f64 v[192:193], v[96:97], s[16:17], v[196:197]
	v_add_f64 v[198:199], v[210:211], v[198:199]
	v_fma_f64 v[202:203], v[144:145], s[38:39], -v[202:203]
	v_add_f64 v[200:201], v[204:205], v[200:201]
	v_add_f64 v[180:181], v[190:191], v[180:181]
	v_mul_f64 v[190:191], v[160:161], s[58:59]
	v_fma_f64 v[204:205], v[154:155], s[28:29], v[188:189]
	v_fma_f64 v[208:209], v[156:157], s[6:7], -v[212:213]
	v_add_f64 v[206:207], v[28:29], v[206:207]
	v_add_f64 v[192:193], v[192:193], v[198:199]
	v_fma_f64 v[188:189], v[154:155], s[28:29], -v[188:189]
	v_add_f64 v[198:199], v[202:203], v[200:201]
	v_mul_f64 v[200:201], v[168:169], s[52:53]
	v_fma_f64 v[202:203], v[166:167], s[42:43], v[190:191]
	v_fma_f64 v[194:195], v[140:141], s[28:29], -v[194:195]
	v_add_f64 v[208:209], v[28:29], v[208:209]
	v_add_f64 v[204:205], v[204:205], v[206:207]
	;; [unrolled: 1-line block ×3, first 2 shown]
	v_fma_f64 v[190:191], v[166:167], s[42:43], -v[190:191]
	v_mul_f64 v[212:213], v[164:165], s[46:47]
	v_fma_f64 v[210:211], v[158:159], s[22:23], v[200:201]
	v_fma_f64 v[200:201], v[158:159], s[22:23], -v[200:201]
	v_add_f64 v[194:195], v[194:195], v[198:199]
	v_add_f64 v[188:189], v[188:189], v[208:209]
	;; [unrolled: 1-line block ×4, first 2 shown]
	v_mul_f64 v[198:199], v[152:153], s[24:25]
	v_mul_f64 v[208:209], v[150:151], s[36:37]
	v_fma_f64 v[216:217], v[156:157], s[16:17], v[212:213]
	v_mul_f64 v[164:165], v[164:165], s[36:37]
	v_fma_f64 v[212:213], v[156:157], s[16:17], -v[212:213]
	v_add_f64 v[188:189], v[190:191], v[188:189]
	v_add_f64 v[190:191], v[210:211], v[202:203]
	;; [unrolled: 1-line block ×3, first 2 shown]
	v_fma_f64 v[214:215], v[148:149], s[16:17], v[198:199]
	v_mul_f64 v[210:211], v[162:163], s[44:45]
	v_fma_f64 v[198:199], v[148:149], s[16:17], -v[198:199]
	v_mul_f64 v[204:205], v[146:147], s[44:45]
	v_fma_f64 v[218:219], v[144:145], s[14:15], v[208:209]
	v_add_f64 v[188:189], v[200:201], v[188:189]
	v_add_f64 v[216:217], v[28:29], v[216:217]
	;; [unrolled: 1-line block ×4, first 2 shown]
	v_mul_f64 v[202:203], v[160:161], s[34:35]
	v_fma_f64 v[214:215], v[154:155], s[8:9], v[210:211]
	v_fma_f64 v[220:221], v[140:141], s[8:9], v[204:205]
	v_fma_f64 v[208:209], v[144:145], s[14:15], -v[208:209]
	v_add_f64 v[188:189], v[198:199], v[188:189]
	v_mul_f64 v[162:163], v[162:163], s[46:47]
	v_add_f64 v[198:199], v[16:17], v[200:201]
	v_add_f64 v[190:191], v[218:219], v[190:191]
	v_mul_f64 v[200:201], v[168:169], s[48:49]
	v_fma_f64 v[218:219], v[166:167], s[28:29], v[202:203]
	v_add_f64 v[214:215], v[214:215], v[216:217]
	v_fma_f64 v[226:227], v[156:157], s[14:15], -v[164:165]
	v_add_f64 v[188:189], v[208:209], v[188:189]
	v_mul_f64 v[208:209], v[152:153], s[56:57]
	v_add_f64 v[198:199], v[12:13], v[198:199]
	v_add_f64 v[190:191], v[220:221], v[190:191]
	v_fma_f64 v[220:221], v[158:159], s[42:43], v[200:201]
	v_fma_f64 v[156:157], v[156:157], s[14:15], v[164:165]
	v_add_f64 v[214:215], v[218:219], v[214:215]
	v_mul_f64 v[160:161], v[160:161], s[54:55]
	v_fma_f64 v[164:165], v[154:155], s[16:17], -v[162:163]
	v_fma_f64 v[222:223], v[148:149], s[38:39], v[208:209]
	v_add_f64 v[198:199], v[8:9], v[198:199]
	v_fma_f64 v[210:211], v[154:155], s[8:9], -v[210:211]
	v_add_f64 v[212:213], v[28:29], v[212:213]
	v_fma_f64 v[154:155], v[154:155], s[16:17], v[162:163]
	v_add_f64 v[214:215], v[220:221], v[214:215]
	v_mul_f64 v[168:169], v[168:169], s[44:45]
	v_fma_f64 v[204:205], v[140:141], s[8:9], -v[204:205]
	v_mul_f64 v[152:153], v[152:153], s[30:31]
	v_add_f64 v[198:199], v[0:1], v[198:199]
	v_mul_f64 v[218:219], v[146:147], s[20:21]
	v_mul_f64 v[146:147], v[146:147], s[40:41]
	;; [unrolled: 1-line block ×3, first 2 shown]
	v_add_f64 v[214:215], v[222:223], v[214:215]
	v_add_f64 v[222:223], v[28:29], v[226:227]
	;; [unrolled: 1-line block ×3, first 2 shown]
	v_fma_f64 v[156:157], v[166:167], s[6:7], -v[160:161]
	v_add_f64 v[198:199], v[4:5], v[198:199]
	v_fma_f64 v[160:161], v[166:167], s[6:7], v[160:161]
	v_add_f64 v[188:189], v[204:205], v[188:189]
	v_mul_f64 v[204:205], v[150:151], s[52:53]
	v_mul_f64 v[150:151], v[150:151], s[34:35]
	v_add_f64 v[162:163], v[164:165], v[222:223]
	v_add_f64 v[28:29], v[154:155], v[28:29]
	v_fma_f64 v[154:155], v[158:159], s[8:9], -v[168:169]
	v_add_f64 v[164:165], v[20:21], v[198:199]
	v_fma_f64 v[198:199], v[166:167], s[28:29], -v[202:203]
	v_add_f64 v[202:203], v[210:211], v[212:213]
	v_fma_f64 v[228:229], v[144:145], s[22:23], v[204:205]
	v_mul_f64 v[220:221], v[142:143], s[26:27]
	v_add_f64 v[156:157], v[156:157], v[162:163]
	v_add_f64 v[28:29], v[160:161], v[28:29]
	v_fma_f64 v[160:161], v[148:149], s[22:23], -v[152:153]
	v_add_f64 v[162:163], v[32:33], v[164:165]
	v_fma_f64 v[164:165], v[158:159], s[42:43], -v[200:201]
	v_add_f64 v[166:167], v[198:199], v[202:203]
	v_fma_f64 v[158:159], v[158:159], s[8:9], v[168:169]
	v_mul_f64 v[142:143], v[142:143], s[48:49]
	v_add_f64 v[154:155], v[154:155], v[156:157]
	v_fma_f64 v[224:225], v[140:141], s[6:7], v[218:219]
	v_fma_f64 v[216:217], v[96:97], s[38:39], v[206:207]
	v_add_f64 v[156:157], v[40:41], v[162:163]
	v_fma_f64 v[162:163], v[148:149], s[38:39], -v[208:209]
	v_add_f64 v[164:165], v[164:165], v[166:167]
	v_fma_f64 v[148:149], v[148:149], s[22:23], v[152:153]
	v_add_f64 v[28:29], v[158:159], v[28:29]
	v_fma_f64 v[152:153], v[144:145], s[28:29], -v[150:151]
	v_add_f64 v[154:155], v[160:161], v[154:155]
	v_fma_f64 v[158:159], v[144:145], s[22:23], -v[204:205]
	v_add_f64 v[156:157], v[48:49], v[156:157]
	v_fma_f64 v[144:145], v[144:145], s[28:29], v[150:151]
	v_add_f64 v[160:161], v[162:163], v[164:165]
	v_fma_f64 v[206:207], v[96:97], s[38:39], -v[206:207]
	v_add_f64 v[28:29], v[148:149], v[28:29]
	v_fma_f64 v[148:149], v[140:141], s[38:39], -v[146:147]
	;; [unrolled: 2-line block ×3, first 2 shown]
	v_add_f64 v[152:153], v[68:69], v[156:157]
	v_fma_f64 v[140:141], v[140:141], s[38:39], v[146:147]
	v_add_f64 v[156:157], v[158:159], v[160:161]
	v_add_f64 v[158:159], v[228:229], v[214:215]
	;; [unrolled: 1-line block ×3, first 2 shown]
	v_fma_f64 v[144:145], v[96:97], s[42:43], -v[142:143]
	v_add_f64 v[146:147], v[148:149], v[150:151]
	v_fma_f64 v[150:151], v[96:97], s[14:15], -v[220:221]
	v_add_f64 v[148:149], v[80:81], v[152:153]
	v_fma_f64 v[196:197], v[96:97], s[16:17], -v[196:197]
	v_add_f64 v[152:153], v[154:155], v[156:157]
	v_fma_f64 v[154:155], v[96:97], s[14:15], v[220:221]
	v_add_f64 v[156:157], v[224:225], v[158:159]
	v_fma_f64 v[96:97], v[96:97], s[42:43], v[142:143]
	v_add_f64 v[28:29], v[140:141], v[28:29]
	v_add_f64 v[140:141], v[144:145], v[146:147]
	;; [unrolled: 1-line block ×9, first 2 shown]
	v_add_u32_e32 v96, 0x1b18, v175
	ds_write2_b64 v96, v[142:143], v[140:141] offset1:1
	v_add_u32_e32 v96, 0x1b28, v175
	ds_write2_b64 v96, v[146:147], v[144:145] offset1:1
	;; [unrolled: 2-line block ×8, first 2 shown]
	ds_write_b64 v175, v[28:29] offset:7064
.LBB0_17:
	s_or_b64 exec, exec, s[60:61]
	v_add_f64 v[28:29], v[122:123], v[98:99]
	v_add_f64 v[96:97], v[120:121], -v[128:129]
	v_add_f64 v[120:121], v[130:131], v[122:123]
	v_add_f64 v[122:123], v[126:127], v[114:115]
	v_add_f64 v[112:113], v[112:113], -v[124:125]
	v_add_f64 v[108:109], v[108:109], -v[132:133]
	v_add_f64 v[124:125], v[134:135], v[110:111]
	v_add_f64 v[100:101], v[100:101], -v[116:117]
	v_add_f64 v[28:29], v[114:115], v[28:29]
	v_mul_f64 v[114:115], v[96:97], s[36:37]
	v_mul_f64 v[128:129], v[96:97], s[46:47]
	;; [unrolled: 1-line block ×7, first 2 shown]
	v_add_f64 v[28:29], v[110:111], v[28:29]
	v_mul_f64 v[96:97], v[96:97], s[48:49]
	v_mul_f64 v[110:111], v[112:113], s[46:47]
	v_mul_f64 v[148:149], v[112:113], s[44:45]
	v_mul_f64 v[150:151], v[112:113], s[34:35]
	v_mul_f64 v[152:153], v[112:113], s[48:49]
	v_fma_f64 v[170:171], v[120:121], s[14:15], v[114:115]
	v_fma_f64 v[114:115], v[120:121], s[14:15], -v[114:115]
	v_add_f64 v[28:29], v[102:103], v[28:29]
	v_fma_f64 v[172:173], v[120:121], s[16:17], v[128:129]
	v_fma_f64 v[128:129], v[120:121], s[16:17], -v[128:129]
	v_fma_f64 v[176:177], v[120:121], s[6:7], v[132:133]
	v_fma_f64 v[132:133], v[120:121], s[6:7], -v[132:133]
	v_fma_f64 v[178:179], v[120:121], s[8:9], v[140:141]
	v_mul_f64 v[154:155], v[112:113], s[56:57]
	v_mul_f64 v[156:157], v[112:113], s[52:53]
	v_add_f64 v[28:29], v[90:91], v[28:29]
	v_mul_f64 v[158:159], v[112:113], s[20:21]
	v_mul_f64 v[112:113], v[112:113], s[26:27]
	;; [unrolled: 1-line block ×6, first 2 shown]
	v_fma_f64 v[140:141], v[120:121], s[8:9], -v[140:141]
	v_add_f64 v[28:29], v[74:75], v[28:29]
	v_fma_f64 v[180:181], v[120:121], s[22:23], v[142:143]
	v_fma_f64 v[142:143], v[120:121], s[22:23], -v[142:143]
	v_fma_f64 v[182:183], v[120:121], s[28:29], v[144:145]
	v_fma_f64 v[144:145], v[120:121], s[28:29], -v[144:145]
	;; [unrolled: 2-line block ×3, first 2 shown]
	v_fma_f64 v[186:187], v[120:121], s[42:43], v[96:97]
	v_add_f64 v[28:29], v[66:67], v[28:29]
	v_fma_f64 v[96:97], v[120:121], s[42:43], -v[96:97]
	v_fma_f64 v[120:121], v[122:123], s[16:17], v[110:111]
	v_fma_f64 v[110:111], v[122:123], s[16:17], -v[110:111]
	v_fma_f64 v[188:189], v[122:123], s[8:9], v[148:149]
	;; [unrolled: 2-line block ×3, first 2 shown]
	v_fma_f64 v[150:151], v[122:123], s[28:29], -v[150:151]
	v_add_f64 v[28:29], v[54:55], v[28:29]
	v_fma_f64 v[192:193], v[122:123], s[42:43], v[152:153]
	v_add_f64 v[170:171], v[98:99], v[170:171]
	v_add_f64 v[114:115], v[98:99], v[114:115]
	;; [unrolled: 1-line block ×8, first 2 shown]
	v_mul_f64 v[168:169], v[108:109], s[24:25]
	v_fma_f64 v[152:153], v[122:123], s[42:43], -v[152:153]
	v_fma_f64 v[194:195], v[122:123], s[38:39], v[154:155]
	v_fma_f64 v[154:155], v[122:123], s[38:39], -v[154:155]
	v_fma_f64 v[196:197], v[122:123], s[22:23], v[156:157]
	v_fma_f64 v[156:157], v[122:123], s[22:23], -v[156:157]
	v_add_f64 v[28:29], v[78:79], v[28:29]
	v_fma_f64 v[198:199], v[122:123], s[6:7], v[158:159]
	v_fma_f64 v[158:159], v[122:123], s[6:7], -v[158:159]
	v_fma_f64 v[200:201], v[122:123], s[14:15], v[112:113]
	v_fma_f64 v[112:113], v[122:123], s[14:15], -v[112:113]
	v_fma_f64 v[122:123], v[124:125], s[6:7], v[160:161]
	v_fma_f64 v[202:203], v[124:125], s[28:29], v[162:163]
	v_fma_f64 v[162:163], v[124:125], s[28:29], -v[162:163]
	v_add_f64 v[28:29], v[94:95], v[28:29]
	v_fma_f64 v[204:205], v[124:125], s[42:43], v[164:165]
	v_fma_f64 v[164:165], v[124:125], s[42:43], -v[164:165]
	v_fma_f64 v[206:207], v[124:125], s[22:23], v[166:167]
	v_add_f64 v[140:141], v[98:99], v[140:141]
	v_add_f64 v[180:181], v[98:99], v[180:181]
	v_add_f64 v[142:143], v[98:99], v[142:143]
	v_add_f64 v[182:183], v[98:99], v[182:183]
	v_add_f64 v[28:29], v[106:107], v[28:29]
	v_add_f64 v[144:145], v[98:99], v[144:145]
	v_add_f64 v[184:185], v[98:99], v[184:185]
	v_add_f64 v[146:147], v[98:99], v[146:147]
	v_add_f64 v[186:187], v[98:99], v[186:187]
	v_add_f64 v[96:97], v[98:99], v[96:97]
	v_add_f64 v[98:99], v[120:121], v[170:171]
	v_add_f64 v[110:111], v[110:111], v[114:115]
	v_add_f64 v[28:29], v[118:119], v[28:29]
	v_add_f64 v[114:115], v[188:189], v[172:173]
	v_add_f64 v[120:121], v[148:149], v[128:129]
	v_add_f64 v[128:129], v[190:191], v[176:177]
	v_add_f64 v[132:133], v[150:151], v[132:133]
	v_add_f64 v[148:149], v[192:193], v[178:179]
	v_add_f64 v[142:143], v[154:155], v[142:143]
	v_add_f64 v[96:97], v[112:113], v[96:97]
	v_add_f64 v[28:29], v[134:135], v[28:29]
	v_add_f64 v[98:99], v[122:123], v[98:99]
	v_add_f64 v[112:113], v[202:203], v[114:115]
	v_add_f64 v[114:115], v[162:163], v[120:121]
	v_add_f64 v[120:121], v[204:205], v[128:129]
	v_mul_f64 v[122:123], v[108:109], s[36:37]
	v_fma_f64 v[160:161], v[124:125], s[6:7], -v[160:161]
	v_fma_f64 v[166:167], v[124:125], s[22:23], -v[166:167]
	v_add_f64 v[28:29], v[126:127], v[28:29]
	v_fma_f64 v[208:209], v[124:125], s[16:17], v[168:169]
	v_add_f64 v[150:151], v[196:197], v[182:183]
	v_add_f64 v[144:145], v[156:157], v[144:145]
	;; [unrolled: 1-line block ×3, first 2 shown]
	v_fma_f64 v[116:117], v[124:125], s[14:15], v[122:123]
	v_fma_f64 v[122:123], v[124:125], s[14:15], -v[122:123]
	v_add_f64 v[102:103], v[118:119], v[102:103]
	v_add_f64 v[128:129], v[130:131], v[28:29]
	;; [unrolled: 1-line block ×3, first 2 shown]
	v_fma_f64 v[130:131], v[124:125], s[16:17], -v[168:169]
	v_add_f64 v[132:133], v[206:207], v[148:149]
	v_mul_f64 v[148:149], v[108:109], s[44:45]
	v_mul_f64 v[108:109], v[108:109], s[40:41]
	;; [unrolled: 1-line block ×3, first 2 shown]
	v_add_f64 v[134:135], v[152:153], v[140:141]
	v_add_f64 v[152:153], v[198:199], v[184:185]
	v_add_f64 v[110:111], v[160:161], v[110:111]
	v_add_f64 v[130:131], v[130:131], v[142:143]
	v_add_f64 v[116:117], v[116:117], v[150:151]
	v_fma_f64 v[142:143], v[124:125], s[8:9], v[148:149]
	v_fma_f64 v[148:149], v[124:125], s[8:9], -v[148:149]
	v_fma_f64 v[154:155], v[124:125], s[38:39], v[108:109]
	v_fma_f64 v[108:109], v[124:125], s[38:39], -v[108:109]
	v_mul_f64 v[124:125], v[100:101], s[48:49]
	v_add_f64 v[122:123], v[122:123], v[144:145]
	v_mul_f64 v[150:151], v[100:101], s[26:27]
	v_add_f64 v[140:141], v[194:195], v[180:181]
	v_add_f64 v[142:143], v[142:143], v[152:153]
	;; [unrolled: 1-line block ×3, first 2 shown]
	v_fma_f64 v[146:147], v[102:103], s[8:9], v[118:119]
	v_mul_f64 v[148:149], v[100:101], s[52:53]
	v_add_f64 v[96:97], v[108:109], v[96:97]
	v_fma_f64 v[108:109], v[102:103], s[8:9], -v[118:119]
	v_fma_f64 v[118:119], v[102:103], s[42:43], v[124:125]
	v_fma_f64 v[124:125], v[102:103], s[42:43], -v[124:125]
	v_add_f64 v[134:135], v[166:167], v[134:135]
	v_add_f64 v[140:141], v[208:209], v[140:141]
	;; [unrolled: 1-line block ×3, first 2 shown]
	v_mul_f64 v[146:147], v[100:101], s[54:55]
	v_fma_f64 v[152:153], v[102:103], s[22:23], v[148:149]
	v_fma_f64 v[148:149], v[102:103], s[22:23], -v[148:149]
	v_add_f64 v[108:109], v[108:109], v[110:111]
	v_add_f64 v[110:111], v[118:119], v[112:113]
	v_fma_f64 v[112:113], v[102:103], s[14:15], v[150:151]
	v_add_f64 v[114:115], v[124:125], v[114:115]
	v_fma_f64 v[118:119], v[102:103], s[14:15], -v[150:151]
	v_fma_f64 v[124:125], v[102:103], s[6:7], v[146:147]
	v_fma_f64 v[146:147], v[102:103], s[6:7], -v[146:147]
	v_add_f64 v[28:29], v[148:149], v[28:29]
	v_mul_f64 v[148:149], v[100:101], s[40:41]
	v_add_f64 v[88:89], v[88:89], -v[104:105]
	v_add_f64 v[112:113], v[112:113], v[132:133]
	v_mul_f64 v[132:133], v[100:101], s[50:51]
	v_mul_f64 v[100:101], v[100:101], s[24:25]
	v_add_f64 v[118:119], v[118:119], v[134:135]
	v_add_f64 v[124:125], v[124:125], v[140:141]
	;; [unrolled: 1-line block ×3, first 2 shown]
	v_fma_f64 v[104:105], v[102:103], s[38:39], v[148:149]
	v_fma_f64 v[134:135], v[102:103], s[38:39], -v[148:149]
	v_add_f64 v[90:91], v[106:107], v[90:91]
	v_fma_f64 v[140:141], v[102:103], s[28:29], v[132:133]
	v_mul_f64 v[106:107], v[88:89], s[30:31]
	v_fma_f64 v[146:147], v[102:103], s[16:17], v[100:101]
	v_fma_f64 v[100:101], v[102:103], s[16:17], -v[100:101]
	v_fma_f64 v[132:133], v[102:103], s[28:29], -v[132:133]
	v_add_f64 v[104:105], v[104:105], v[116:117]
	v_add_f64 v[102:103], v[134:135], v[122:123]
	v_mul_f64 v[116:117], v[88:89], s[56:57]
	v_add_f64 v[122:123], v[140:141], v[142:143]
	v_fma_f64 v[134:135], v[90:91], s[22:23], v[106:107]
	v_mul_f64 v[140:141], v[88:89], s[24:25]
	v_add_f64 v[96:97], v[100:101], v[96:97]
	v_fma_f64 v[100:101], v[90:91], s[22:23], -v[106:107]
	v_mul_f64 v[142:143], v[88:89], s[54:55]
	v_add_f64 v[126:127], v[200:201], v[186:187]
	v_add_f64 v[132:133], v[132:133], v[144:145]
	v_fma_f64 v[106:107], v[90:91], s[38:39], v[116:117]
	v_fma_f64 v[116:117], v[90:91], s[38:39], -v[116:117]
	v_add_f64 v[98:99], v[134:135], v[98:99]
	v_mul_f64 v[134:135], v[88:89], s[48:49]
	v_fma_f64 v[144:145], v[90:91], s[16:17], v[140:141]
	v_fma_f64 v[140:141], v[90:91], s[16:17], -v[140:141]
	v_add_f64 v[100:101], v[100:101], v[108:109]
	v_fma_f64 v[108:109], v[90:91], s[6:7], v[142:143]
	v_add_f64 v[126:127], v[154:155], v[126:127]
	v_add_f64 v[106:107], v[106:107], v[110:111]
	;; [unrolled: 1-line block ×3, first 2 shown]
	v_fma_f64 v[114:115], v[90:91], s[6:7], -v[142:143]
	v_fma_f64 v[116:117], v[90:91], s[42:43], v[134:135]
	v_add_f64 v[28:29], v[140:141], v[28:29]
	v_mul_f64 v[140:141], v[88:89], s[18:19]
	v_fma_f64 v[134:135], v[90:91], s[42:43], -v[134:135]
	v_add_f64 v[108:109], v[108:109], v[112:113]
	v_mul_f64 v[112:113], v[88:89], s[36:37]
	v_add_f64 v[72:73], v[72:73], -v[92:93]
	v_mul_f64 v[88:89], v[88:89], s[34:35]
	v_add_f64 v[126:127], v[146:147], v[126:127]
	v_add_f64 v[114:115], v[114:115], v[118:119]
	;; [unrolled: 1-line block ×3, first 2 shown]
	v_fma_f64 v[92:93], v[90:91], s[8:9], v[140:141]
	v_add_f64 v[118:119], v[134:135], v[130:131]
	v_fma_f64 v[124:125], v[90:91], s[8:9], -v[140:141]
	v_fma_f64 v[130:131], v[90:91], s[14:15], v[112:113]
	v_add_f64 v[74:75], v[94:95], v[74:75]
	v_mul_f64 v[94:95], v[72:73], s[34:35]
	v_fma_f64 v[134:135], v[90:91], s[28:29], v[88:89]
	v_fma_f64 v[88:89], v[90:91], s[28:29], -v[88:89]
	v_fma_f64 v[112:113], v[90:91], s[14:15], -v[112:113]
	v_add_f64 v[92:93], v[92:93], v[104:105]
	v_add_f64 v[90:91], v[124:125], v[102:103]
	;; [unrolled: 1-line block ×3, first 2 shown]
	v_mul_f64 v[104:105], v[72:73], s[52:53]
	v_fma_f64 v[122:123], v[74:75], s[28:29], v[94:95]
	v_add_f64 v[124:125], v[134:135], v[126:127]
	v_mul_f64 v[126:127], v[72:73], s[36:37]
	v_add_f64 v[88:89], v[88:89], v[96:97]
	v_fma_f64 v[94:95], v[74:75], s[28:29], -v[94:95]
	v_mul_f64 v[96:97], v[72:73], s[40:41]
	v_add_f64 v[112:113], v[112:113], v[132:133]
	v_fma_f64 v[130:131], v[74:75], s[22:23], v[104:105]
	v_fma_f64 v[104:105], v[74:75], s[22:23], -v[104:105]
	v_add_f64 v[98:99], v[122:123], v[98:99]
	v_mul_f64 v[122:123], v[72:73], s[18:19]
	v_fma_f64 v[132:133], v[74:75], s[14:15], v[126:127]
	v_fma_f64 v[126:127], v[74:75], s[14:15], -v[126:127]
	v_add_f64 v[94:95], v[94:95], v[100:101]
	v_fma_f64 v[100:101], v[74:75], s[38:39], v[96:97]
	v_add_f64 v[64:65], v[64:65], -v[76:77]
	v_add_f64 v[104:105], v[104:105], v[110:111]
	v_add_f64 v[120:121], v[152:153], v[120:121]
	v_fma_f64 v[110:111], v[74:75], s[8:9], v[122:123]
	v_fma_f64 v[96:97], v[74:75], s[38:39], -v[96:97]
	v_add_f64 v[28:29], v[126:127], v[28:29]
	v_mul_f64 v[126:127], v[72:73], s[46:47]
	v_add_f64 v[100:101], v[100:101], v[108:109]
	v_fma_f64 v[108:109], v[74:75], s[8:9], -v[122:123]
	v_mul_f64 v[122:123], v[72:73], s[48:49]
	v_mul_f64 v[72:73], v[72:73], s[20:21]
	v_add_f64 v[110:111], v[110:111], v[116:117]
	v_add_f64 v[66:67], v[78:79], v[66:67]
	v_mul_f64 v[78:79], v[64:65], s[40:41]
	v_fma_f64 v[76:77], v[74:75], s[16:17], v[126:127]
	v_add_f64 v[120:121], v[144:145], v[120:121]
	v_add_f64 v[108:109], v[108:109], v[118:119]
	v_fma_f64 v[116:117], v[74:75], s[42:43], v[122:123]
	v_fma_f64 v[118:119], v[74:75], s[42:43], -v[122:123]
	v_fma_f64 v[122:123], v[74:75], s[6:7], v[72:73]
	v_fma_f64 v[72:73], v[74:75], s[6:7], -v[72:73]
	v_add_f64 v[96:97], v[96:97], v[114:115]
	v_fma_f64 v[114:115], v[74:75], s[16:17], -v[126:127]
	v_add_f64 v[76:77], v[76:77], v[92:93]
	v_mul_f64 v[92:93], v[64:65], s[20:21]
	v_add_f64 v[74:75], v[116:117], v[102:103]
	v_add_f64 v[102:103], v[118:119], v[112:113]
	v_fma_f64 v[112:113], v[66:67], s[38:39], v[78:79]
	v_mul_f64 v[116:117], v[64:65], s[44:45]
	v_fma_f64 v[78:79], v[66:67], s[38:39], -v[78:79]
	v_add_f64 v[72:73], v[72:73], v[88:89]
	v_mul_f64 v[88:89], v[64:65], s[50:51]
	v_add_f64 v[106:107], v[130:131], v[106:107]
	v_add_f64 v[120:121], v[132:133], v[120:121]
	v_add_f64 v[90:91], v[114:115], v[90:91]
	v_add_f64 v[114:115], v[122:123], v[124:125]
	v_fma_f64 v[118:119], v[66:67], s[6:7], v[92:93]
	v_fma_f64 v[92:93], v[66:67], s[6:7], -v[92:93]
	v_add_f64 v[98:99], v[112:113], v[98:99]
	v_mul_f64 v[112:113], v[64:65], s[36:37]
	v_fma_f64 v[122:123], v[66:67], s[8:9], v[116:117]
	v_add_f64 v[78:79], v[78:79], v[94:95]
	v_fma_f64 v[94:95], v[66:67], s[8:9], -v[116:117]
	v_fma_f64 v[116:117], v[66:67], s[28:29], v[88:89]
	v_add_f64 v[106:107], v[118:119], v[106:107]
	v_add_f64 v[92:93], v[92:93], v[104:105]
	v_fma_f64 v[88:89], v[66:67], s[28:29], -v[88:89]
	v_fma_f64 v[104:105], v[66:67], s[14:15], v[112:113]
	v_add_f64 v[118:119], v[122:123], v[120:121]
	v_mul_f64 v[120:121], v[64:65], s[48:49]
	v_add_f64 v[28:29], v[94:95], v[28:29]
	v_add_f64 v[94:95], v[116:117], v[100:101]
	v_fma_f64 v[100:101], v[66:67], s[14:15], -v[112:113]
	v_mul_f64 v[112:113], v[64:65], s[24:25]
	v_add_f64 v[52:53], v[52:53], -v[56:57]
	v_add_f64 v[88:89], v[88:89], v[96:97]
	v_add_f64 v[96:97], v[104:105], v[110:111]
	v_fma_f64 v[56:57], v[66:67], s[42:43], v[120:121]
	v_fma_f64 v[104:105], v[66:67], s[42:43], -v[120:121]
	v_mul_f64 v[64:65], v[64:65], s[30:31]
	v_add_f64 v[100:101], v[100:101], v[108:109]
	v_fma_f64 v[108:109], v[66:67], s[16:17], v[112:113]
	v_add_f64 v[54:55], v[58:59], v[54:55]
	v_mul_f64 v[58:59], v[52:53], s[48:49]
	v_fma_f64 v[110:111], v[66:67], s[16:17], -v[112:113]
	v_add_f64 v[56:57], v[56:57], v[76:77]
	v_add_f64 v[76:77], v[104:105], v[90:91]
	v_fma_f64 v[90:91], v[66:67], s[22:23], v[64:65]
	v_fma_f64 v[64:65], v[66:67], s[22:23], -v[64:65]
	v_add_f64 v[74:75], v[108:109], v[74:75]
	v_mul_f64 v[108:109], v[52:53], s[40:41]
	v_fma_f64 v[66:67], v[54:55], s[42:43], v[58:59]
	v_fma_f64 v[58:59], v[54:55], s[42:43], -v[58:59]
	v_mul_f64 v[104:105], v[52:53], s[26:27]
	v_mul_f64 v[112:113], v[52:53], s[24:25]
	v_add_f64 v[102:103], v[110:111], v[102:103]
	v_add_f64 v[64:65], v[64:65], v[72:73]
	;; [unrolled: 1-line block ×3, first 2 shown]
	s_waitcnt lgkmcnt(0)
	v_add_f64 v[130:131], v[66:67], v[98:99]
	v_add_f64 v[132:133], v[58:59], v[78:79]
	v_fma_f64 v[58:59], v[54:55], s[38:39], -v[108:109]
	v_fma_f64 v[110:111], v[54:55], s[14:15], v[104:105]
	v_fma_f64 v[104:105], v[54:55], s[14:15], -v[104:105]
	v_fma_f64 v[66:67], v[54:55], s[38:39], v[108:109]
	;; [unrolled: 2-line block ×3, first 2 shown]
	; wave barrier
	v_add_u32_e32 v121, 51, v174
	v_add_f64 v[144:145], v[58:59], v[28:29]
	v_mul_f64 v[28:29], v[52:53], s[30:31]
	v_add_f64 v[140:141], v[104:105], v[92:93]
	v_mul_f64 v[92:93], v[52:53], s[34:35]
	;; [unrolled: 2-line block ×3, first 2 shown]
	v_mul_f64 v[52:53], v[52:53], s[18:19]
	v_add_f64 v[148:149], v[78:79], v[88:89]
	v_add_f64 v[146:147], v[72:73], v[94:95]
	v_fma_f64 v[88:89], v[54:55], s[22:23], v[28:29]
	v_fma_f64 v[28:29], v[54:55], s[22:23], -v[28:29]
	v_fma_f64 v[58:59], v[54:55], s[28:29], v[92:93]
	v_fma_f64 v[72:73], v[54:55], s[28:29], -v[92:93]
	;; [unrolled: 2-line block ×4, first 2 shown]
	v_add_f64 v[134:135], v[110:111], v[106:107]
	v_add_f64 v[160:161], v[28:29], v[102:103]
	v_lshlrev_b32_e32 v28, 7, v174
	v_sub_u32_e32 v120, v175, v28
	v_add_u32_e32 v123, 0x800, v120
	v_add_u32_e32 v122, 0x1800, v120
	;; [unrolled: 1-line block ×6, first 2 shown]
	v_add_f64 v[150:151], v[58:59], v[96:97]
	v_add_f64 v[152:153], v[72:73], v[100:101]
	;; [unrolled: 1-line block ×7, first 2 shown]
	ds_read2_b64 v[76:79], v120 offset1:51
	ds_read2_b64 v[52:55], v123 offset0:152 offset1:203
	ds_read2_b64 v[116:119], v122 offset0:150 offset1:201
	;; [unrolled: 1-line block ×12, first 2 shown]
	ds_read_b64 v[28:29], v120 offset:10608
	s_waitcnt lgkmcnt(0)
	; wave barrier
	s_waitcnt lgkmcnt(0)
	ds_write2_b64 v175, v[128:129], v[130:131] offset1:1
	ds_write2_b64 v175, v[134:135], v[142:143] offset0:2 offset1:3
	ds_write2_b64 v175, v[146:147], v[150:151] offset0:4 offset1:5
	ds_write2_b64 v175, v[154:155], v[158:159] offset0:6 offset1:7
	ds_write2_b64 v175, v[162:163], v[164:165] offset0:8 offset1:9
	ds_write2_b64 v175, v[160:161], v[156:157] offset0:10 offset1:11
	ds_write2_b64 v175, v[152:153], v[148:149] offset0:12 offset1:13
	ds_write2_b64 v175, v[144:145], v[140:141] offset0:14 offset1:15
	ds_write_b64 v175, v[132:133] offset:128
	s_and_saveexec_b64 s[6:7], s[0:1]
	s_cbranch_execz .LBB0_19
; %bb.18:
	v_add_f64 v[128:129], v[62:63], v[30:31]
	v_add_f64 v[60:61], v[60:61], -v[84:85]
	v_add_f64 v[44:45], v[44:45], -v[80:81]
	s_mov_b32 s44, 0x7c9e640b
	s_mov_b32 s45, 0xbfeca52d
	v_add_f64 v[62:63], v[86:87], v[62:63]
	s_mov_b32 s26, 0x5d8e7cdc
	s_mov_b32 s42, 0x2a9d6da3
	v_add_f64 v[84:85], v[46:47], v[128:129]
	v_mul_f64 v[130:131], v[60:61], s[44:45]
	s_mov_b32 s0, 0x2b2883cd
	s_mov_b32 s38, 0xeb564b22
	;; [unrolled: 1-line block ×6, first 2 shown]
	v_add_f64 v[84:85], v[38:39], v[84:85]
	s_mov_b32 s27, 0xbfd71e95
	s_mov_b32 s43, 0xbfe58eea
	;; [unrolled: 1-line block ×7, first 2 shown]
	v_add_f64 v[84:85], v[26:27], v[84:85]
	s_mov_b32 s41, 0xbfc7851a
	v_add_f64 v[46:47], v[82:83], v[46:47]
	v_mul_f64 v[128:129], v[60:61], s[42:43]
	v_mul_f64 v[132:133], v[60:61], s[38:39]
	;; [unrolled: 1-line block ×5, first 2 shown]
	v_add_f64 v[84:85], v[18:19], v[84:85]
	v_mul_f64 v[148:149], v[44:45], s[24:25]
	v_fma_f64 v[162:163], v[62:63], s[0:1], v[130:131]
	v_fma_f64 v[130:131], v[62:63], s[0:1], -v[130:131]
	s_mov_b32 s18, 0x370991
	s_mov_b32 s14, 0x75d4884
	;; [unrolled: 1-line block ×4, first 2 shown]
	v_add_f64 v[84:85], v[14:15], v[84:85]
	s_mov_b32 s28, 0x910ea3b9
	s_mov_b32 s34, 0x7faef3
	;; [unrolled: 1-line block ×7, first 2 shown]
	v_add_f64 v[80:81], v[10:11], v[84:85]
	v_mul_f64 v[84:85], v[60:61], s[26:27]
	v_mul_f64 v[60:61], v[60:61], s[40:41]
	s_mov_b32 s35, 0xbfef7484
	s_mov_b32 s51, 0x3feec746
	;; [unrolled: 1-line block ×3, first 2 shown]
	v_mul_f64 v[144:145], v[44:45], s[42:43]
	v_mul_f64 v[146:147], v[44:45], s[38:39]
	v_add_f64 v[80:81], v[2:3], v[80:81]
	v_mul_f64 v[150:151], v[44:45], s[40:41]
	v_mul_f64 v[154:155], v[44:45], s[50:51]
	v_fma_f64 v[158:159], v[62:63], s[18:19], v[84:85]
	v_fma_f64 v[84:85], v[62:63], s[18:19], -v[84:85]
	v_fma_f64 v[160:161], v[62:63], s[14:15], v[128:129]
	v_fma_f64 v[128:129], v[62:63], s[14:15], -v[128:129]
	v_fma_f64 v[164:165], v[62:63], s[8:9], v[132:133]
	v_add_f64 v[80:81], v[6:7], v[80:81]
	v_fma_f64 v[132:133], v[62:63], s[8:9], -v[132:133]
	v_fma_f64 v[166:167], v[62:63], s[16:17], v[134:135]
	v_fma_f64 v[134:135], v[62:63], s[16:17], -v[134:135]
	v_fma_f64 v[168:169], v[62:63], s[22:23], v[140:141]
	;; [unrolled: 2-line block ×3, first 2 shown]
	v_fma_f64 v[142:143], v[62:63], s[28:29], -v[142:143]
	v_add_f64 v[80:81], v[22:23], v[80:81]
	v_fma_f64 v[172:173], v[62:63], s[34:35], v[60:61]
	v_fma_f64 v[60:61], v[62:63], s[34:35], -v[60:61]
	v_fma_f64 v[177:178], v[46:47], s[22:23], v[148:149]
	v_fma_f64 v[148:149], v[46:47], s[22:23], -v[148:149]
	v_add_f64 v[130:131], v[30:31], v[130:131]
	s_mov_b32 s53, 0x3fe0d888
	s_mov_b32 s37, 0x3feca52d
	v_add_f64 v[80:81], v[34:35], v[80:81]
	s_mov_b32 s52, s30
	s_mov_b32 s36, s44
	;; [unrolled: 1-line block ×4, first 2 shown]
	v_mul_f64 v[152:153], v[44:45], s[52:53]
	v_mul_f64 v[156:157], v[44:45], s[36:37]
	v_fma_f64 v[62:63], v[46:47], s[14:15], v[144:145]
	v_add_f64 v[80:81], v[42:43], v[80:81]
	v_fma_f64 v[144:145], v[46:47], s[14:15], -v[144:145]
	v_fma_f64 v[175:176], v[46:47], s[8:9], v[146:147]
	v_fma_f64 v[146:147], v[46:47], s[8:9], -v[146:147]
	v_fma_f64 v[179:180], v[46:47], s[34:35], v[150:151]
	v_fma_f64 v[150:151], v[46:47], s[34:35], -v[150:151]
	v_add_f64 v[158:159], v[30:31], v[158:159]
	v_add_f64 v[84:85], v[30:31], v[84:85]
	;; [unrolled: 1-line block ×19, first 2 shown]
	v_add_f64 v[36:37], v[36:37], -v[68:69]
	v_fma_f64 v[148:149], v[46:47], s[16:17], -v[154:155]
	v_mul_f64 v[44:45], v[44:45], s[46:47]
	v_fma_f64 v[181:182], v[46:47], s[28:29], v[152:153]
	v_add_f64 v[80:81], v[144:145], v[84:85]
	v_add_f64 v[84:85], v[146:147], v[128:129]
	v_fma_f64 v[146:147], v[46:47], s[28:29], -v[152:153]
	v_add_f64 v[30:31], v[86:87], v[30:31]
	v_add_f64 v[86:87], v[150:151], v[132:133]
	v_fma_f64 v[150:151], v[46:47], s[0:1], v[156:157]
	v_add_f64 v[38:39], v[70:71], v[38:39]
	v_mul_f64 v[70:71], v[36:37], s[44:45]
	v_fma_f64 v[152:153], v[46:47], s[0:1], -v[156:157]
	v_add_f64 v[140:141], v[148:149], v[140:141]
	v_fma_f64 v[148:149], v[46:47], s[18:19], v[44:45]
	v_fma_f64 v[44:45], v[46:47], s[18:19], -v[44:45]
	s_mov_b32 s49, 0x3fc7851a
	s_mov_b32 s48, s40
	v_add_f64 v[62:63], v[62:63], v[158:159]
	v_fma_f64 v[68:69], v[46:47], s[16:17], v[154:155]
	v_add_f64 v[134:135], v[146:147], v[134:135]
	v_add_f64 v[146:147], v[150:151], v[170:171]
	v_fma_f64 v[46:47], v[38:39], s[0:1], v[70:71]
	v_add_f64 v[142:143], v[152:153], v[142:143]
	v_mul_f64 v[150:151], v[36:37], s[24:25]
	v_mul_f64 v[152:153], v[36:37], s[48:49]
	v_add_f64 v[44:45], v[44:45], v[60:61]
	v_fma_f64 v[60:61], v[38:39], s[0:1], -v[70:71]
	v_mul_f64 v[70:71], v[36:37], s[50:51]
	s_mov_b32 s49, 0x3fe58eea
	s_mov_b32 s48, s42
	v_add_f64 v[82:83], v[175:176], v[160:161]
	v_add_f64 v[128:129], v[177:178], v[162:163]
	v_add_f64 v[144:145], v[179:180], v[164:165]
	v_add_f64 v[46:47], v[46:47], v[62:63]
	v_fma_f64 v[62:63], v[38:39], s[22:23], v[150:151]
	v_fma_f64 v[150:151], v[38:39], s[22:23], -v[150:151]
	v_fma_f64 v[154:155], v[38:39], s[34:35], v[152:153]
	v_mul_f64 v[156:157], v[36:37], s[48:49]
	v_add_f64 v[60:61], v[60:61], v[80:81]
	v_fma_f64 v[80:81], v[38:39], s[34:35], -v[152:153]
	v_fma_f64 v[152:153], v[38:39], s[16:17], v[70:71]
	v_add_f64 v[132:133], v[181:182], v[166:167]
	v_add_f64 v[62:63], v[62:63], v[82:83]
	;; [unrolled: 1-line block ×3, first 2 shown]
	v_fma_f64 v[70:71], v[38:39], s[16:17], -v[70:71]
	v_add_f64 v[84:85], v[154:155], v[128:129]
	v_fma_f64 v[128:129], v[38:39], s[14:15], v[156:157]
	v_mul_f64 v[150:151], v[36:37], s[26:27]
	v_add_f64 v[80:81], v[80:81], v[130:131]
	v_add_f64 v[130:131], v[152:153], v[144:145]
	v_mul_f64 v[144:145], v[36:37], s[38:39]
	v_add_f64 v[24:25], v[24:25], -v[48:49]
	v_add_f64 v[68:69], v[68:69], v[168:169]
	v_add_f64 v[70:71], v[70:71], v[86:87]
	v_add_f64 v[48:49], v[128:129], v[132:133]
	v_fma_f64 v[86:87], v[38:39], s[18:19], v[150:151]
	v_mul_f64 v[36:37], v[36:37], s[30:31]
	v_fma_f64 v[128:129], v[38:39], s[18:19], -v[150:151]
	v_fma_f64 v[132:133], v[38:39], s[8:9], v[144:145]
	v_add_f64 v[26:27], v[50:51], v[26:27]
	v_mul_f64 v[50:51], v[24:25], s[38:39]
	v_fma_f64 v[144:145], v[38:39], s[8:9], -v[144:145]
	v_add_f64 v[148:149], v[148:149], v[172:173]
	v_fma_f64 v[152:153], v[38:39], s[14:15], -v[156:157]
	v_add_f64 v[68:69], v[86:87], v[68:69]
	v_fma_f64 v[86:87], v[38:39], s[28:29], v[36:37]
	v_add_f64 v[128:129], v[128:129], v[140:141]
	v_fma_f64 v[36:37], v[38:39], s[28:29], -v[36:37]
	v_mul_f64 v[38:39], v[24:25], s[40:41]
	v_fma_f64 v[140:141], v[26:27], s[8:9], v[50:51]
	v_add_f64 v[142:143], v[144:145], v[142:143]
	v_mul_f64 v[144:145], v[24:25], s[50:51]
	v_add_f64 v[132:133], v[132:133], v[146:147]
	v_add_f64 v[86:87], v[86:87], v[148:149]
	v_fma_f64 v[50:51], v[26:27], s[8:9], -v[50:51]
	v_mul_f64 v[146:147], v[24:25], s[46:47]
	v_add_f64 v[36:37], v[36:37], v[44:45]
	v_fma_f64 v[44:45], v[26:27], s[34:35], v[38:39]
	v_add_f64 v[46:47], v[140:141], v[46:47]
	v_fma_f64 v[38:39], v[26:27], s[34:35], -v[38:39]
	v_fma_f64 v[140:141], v[26:27], s[16:17], v[144:145]
	v_mul_f64 v[148:149], v[24:25], s[44:45]
	s_mov_b32 s55, 0x3fe9895b
	s_mov_b32 s54, s24
	v_add_f64 v[134:135], v[152:153], v[134:135]
	v_fma_f64 v[144:145], v[26:27], s[16:17], -v[144:145]
	v_add_f64 v[50:51], v[50:51], v[60:61]
	v_fma_f64 v[60:61], v[26:27], s[18:19], v[146:147]
	v_add_f64 v[44:45], v[44:45], v[62:63]
	v_mul_f64 v[62:63], v[24:25], s[30:31]
	v_add_f64 v[38:39], v[38:39], v[82:83]
	v_add_f64 v[82:83], v[140:141], v[84:85]
	v_fma_f64 v[84:85], v[26:27], s[18:19], -v[146:147]
	v_fma_f64 v[140:141], v[26:27], s[0:1], -v[148:149]
	v_mul_f64 v[146:147], v[24:25], s[54:55]
	v_mul_f64 v[24:25], v[24:25], s[48:49]
	v_add_f64 v[16:17], v[16:17], -v[40:41]
	v_add_f64 v[80:81], v[144:145], v[80:81]
	v_add_f64 v[60:61], v[60:61], v[130:131]
	v_fma_f64 v[130:131], v[26:27], s[0:1], v[148:149]
	v_fma_f64 v[144:145], v[26:27], s[28:29], v[62:63]
	v_add_f64 v[40:41], v[140:141], v[134:135]
	v_fma_f64 v[62:63], v[26:27], s[28:29], -v[62:63]
	v_fma_f64 v[134:135], v[26:27], s[14:15], v[24:25]
	v_add_f64 v[18:19], v[42:43], v[18:19]
	v_mul_f64 v[42:43], v[16:17], s[20:21]
	v_fma_f64 v[24:25], v[26:27], s[14:15], -v[24:25]
	v_add_f64 v[70:71], v[84:85], v[70:71]
	v_fma_f64 v[84:85], v[26:27], s[22:23], v[146:147]
	v_add_f64 v[48:49], v[130:131], v[48:49]
	v_fma_f64 v[130:131], v[26:27], s[22:23], -v[146:147]
	v_add_f64 v[26:27], v[62:63], v[128:129]
	v_mul_f64 v[62:63], v[16:17], s[52:53]
	v_mul_f64 v[128:129], v[16:17], s[48:49]
	v_add_f64 v[24:25], v[24:25], v[36:37]
	v_fma_f64 v[36:37], v[18:19], s[16:17], -v[42:43]
	v_mul_f64 v[140:141], v[16:17], s[44:45]
	v_add_f64 v[84:85], v[84:85], v[132:133]
	v_fma_f64 v[132:133], v[18:19], s[16:17], v[42:43]
	v_add_f64 v[86:87], v[134:135], v[86:87]
	v_fma_f64 v[42:43], v[18:19], s[28:29], v[62:63]
	v_fma_f64 v[62:63], v[18:19], s[28:29], -v[62:63]
	v_fma_f64 v[134:135], v[18:19], s[14:15], v[128:129]
	v_fma_f64 v[128:129], v[18:19], s[14:15], -v[128:129]
	v_add_f64 v[36:37], v[36:37], v[50:51]
	v_fma_f64 v[50:51], v[18:19], s[0:1], v[140:141]
	v_add_f64 v[46:47], v[132:133], v[46:47]
	v_mul_f64 v[132:133], v[16:17], s[40:41]
	s_mov_b32 s45, 0x3fefdd0d
	s_mov_b32 s44, s38
	v_add_f64 v[38:39], v[62:63], v[38:39]
	v_add_f64 v[62:63], v[128:129], v[80:81]
	v_fma_f64 v[80:81], v[18:19], s[0:1], -v[140:141]
	v_mul_f64 v[128:129], v[16:17], s[44:45]
	v_add_f64 v[50:51], v[50:51], v[60:61]
	v_mul_f64 v[60:61], v[16:17], s[26:27]
	v_add_f64 v[12:13], v[12:13], -v[32:33]
	v_mul_f64 v[16:17], v[16:17], s[24:25]
	v_add_f64 v[42:43], v[42:43], v[44:45]
	v_add_f64 v[44:45], v[134:135], v[82:83]
	v_fma_f64 v[82:83], v[18:19], s[34:35], v[132:133]
	v_add_f64 v[68:69], v[144:145], v[68:69]
	v_add_f64 v[70:71], v[80:81], v[70:71]
	v_fma_f64 v[32:33], v[18:19], s[8:9], v[128:129]
	v_fma_f64 v[80:81], v[18:19], s[8:9], -v[128:129]
	v_add_f64 v[14:15], v[34:35], v[14:15]
	v_mul_f64 v[34:35], v[12:13], s[24:25]
	v_fma_f64 v[128:129], v[18:19], s[22:23], v[16:17]
	v_fma_f64 v[16:17], v[18:19], s[22:23], -v[16:17]
	v_add_f64 v[48:49], v[82:83], v[48:49]
	v_fma_f64 v[82:83], v[18:19], s[18:19], v[60:61]
	v_fma_f64 v[132:133], v[18:19], s[34:35], -v[132:133]
	v_fma_f64 v[60:61], v[18:19], s[18:19], -v[60:61]
	v_add_f64 v[32:33], v[32:33], v[68:69]
	v_add_f64 v[18:19], v[80:81], v[26:27]
	v_mul_f64 v[68:69], v[12:13], s[50:51]
	v_fma_f64 v[80:81], v[14:15], s[22:23], v[34:35]
	v_add_f64 v[16:17], v[16:17], v[24:25]
	v_fma_f64 v[24:25], v[14:15], s[22:23], -v[34:35]
	v_mul_f64 v[34:35], v[12:13], s[30:31]
	v_add_f64 v[26:27], v[82:83], v[84:85]
	v_mul_f64 v[84:85], v[12:13], s[26:27]
	v_add_f64 v[82:83], v[128:129], v[86:87]
	v_fma_f64 v[86:87], v[14:15], s[16:17], v[68:69]
	v_fma_f64 v[68:69], v[14:15], s[16:17], -v[68:69]
	v_add_f64 v[46:47], v[80:81], v[46:47]
	v_mul_f64 v[80:81], v[12:13], s[44:45]
	v_add_f64 v[24:25], v[24:25], v[36:37]
	v_fma_f64 v[36:37], v[14:15], s[28:29], v[34:35]
	v_fma_f64 v[128:129], v[14:15], s[18:19], v[84:85]
	v_fma_f64 v[84:85], v[14:15], s[18:19], -v[84:85]
	v_add_f64 v[40:41], v[132:133], v[40:41]
	v_add_f64 v[38:39], v[68:69], v[38:39]
	v_add_f64 v[8:9], v[8:9], -v[20:21]
	v_fma_f64 v[68:69], v[14:15], s[8:9], v[80:81]
	v_add_f64 v[130:131], v[130:131], v[142:143]
	v_add_f64 v[36:37], v[36:37], v[50:51]
	v_fma_f64 v[50:51], v[14:15], s[8:9], -v[80:81]
	v_mul_f64 v[80:81], v[12:13], s[40:41]
	v_add_f64 v[62:63], v[84:85], v[62:63]
	v_mul_f64 v[84:85], v[12:13], s[42:43]
	v_fma_f64 v[34:35], v[14:15], s[28:29], -v[34:35]
	v_mul_f64 v[12:13], v[12:13], s[36:37]
	v_add_f64 v[10:11], v[22:23], v[10:11]
	v_mul_f64 v[22:23], v[8:9], s[30:31]
	v_add_f64 v[40:41], v[50:51], v[40:41]
	v_fma_f64 v[50:51], v[14:15], s[34:35], v[80:81]
	v_add_f64 v[48:49], v[68:69], v[48:49]
	v_fma_f64 v[68:69], v[14:15], s[14:15], -v[84:85]
	v_add_f64 v[60:61], v[60:61], v[130:131]
	v_add_f64 v[34:35], v[34:35], v[70:71]
	v_fma_f64 v[20:21], v[14:15], s[14:15], v[84:85]
	v_fma_f64 v[70:71], v[14:15], s[34:35], -v[80:81]
	v_fma_f64 v[80:81], v[14:15], s[0:1], v[12:13]
	v_fma_f64 v[12:13], v[14:15], s[0:1], -v[12:13]
	v_add_f64 v[14:15], v[50:51], v[26:27]
	v_mul_f64 v[26:27], v[8:9], s[36:37]
	v_fma_f64 v[50:51], v[10:11], s[28:29], v[22:23]
	v_add_f64 v[18:19], v[68:69], v[18:19]
	v_mul_f64 v[68:69], v[8:9], s[38:39]
	v_fma_f64 v[22:23], v[10:11], s[28:29], -v[22:23]
	v_add_f64 v[42:43], v[86:87], v[42:43]
	v_add_f64 v[20:21], v[20:21], v[32:33]
	;; [unrolled: 1-line block ×4, first 2 shown]
	v_mul_f64 v[16:17], v[8:9], s[54:55]
	v_fma_f64 v[70:71], v[10:11], s[0:1], v[26:27]
	v_fma_f64 v[26:27], v[10:11], s[0:1], -v[26:27]
	v_add_f64 v[46:47], v[50:51], v[46:47]
	v_mul_f64 v[50:51], v[8:9], s[26:27]
	v_add_f64 v[22:23], v[22:23], v[24:25]
	v_fma_f64 v[24:25], v[10:11], s[8:9], -v[68:69]
	v_add_f64 v[60:61], v[80:81], v[82:83]
	v_fma_f64 v[80:81], v[10:11], s[8:9], v[68:69]
	v_fma_f64 v[68:69], v[10:11], s[22:23], v[16:17]
	v_add_f64 v[42:43], v[70:71], v[42:43]
	v_add_f64 v[26:27], v[26:27], v[38:39]
	v_fma_f64 v[16:17], v[10:11], s[22:23], -v[16:17]
	v_fma_f64 v[38:39], v[10:11], s[18:19], v[50:51]
	v_mul_f64 v[70:71], v[8:9], s[40:41]
	v_add_f64 v[24:25], v[24:25], v[62:63]
	v_mul_f64 v[62:63], v[8:9], s[48:49]
	v_add_f64 v[0:1], v[0:1], -v[4:5]
	v_fma_f64 v[50:51], v[10:11], s[18:19], -v[50:51]
	v_mul_f64 v[8:9], v[8:9], s[20:21]
	v_add_f64 v[16:17], v[16:17], v[34:35]
	v_add_f64 v[34:35], v[38:39], v[48:49]
	v_fma_f64 v[4:5], v[10:11], s[34:35], v[70:71]
	v_fma_f64 v[38:39], v[10:11], s[34:35], -v[70:71]
	v_fma_f64 v[48:49], v[10:11], s[14:15], v[62:63]
	v_add_f64 v[2:3], v[6:7], v[2:3]
	v_mul_f64 v[6:7], v[0:1], s[40:41]
	v_add_f64 v[40:41], v[50:51], v[40:41]
	v_fma_f64 v[50:51], v[10:11], s[14:15], -v[62:63]
	v_add_f64 v[44:45], v[128:129], v[44:45]
	v_add_f64 v[4:5], v[4:5], v[20:21]
	;; [unrolled: 1-line block ×3, first 2 shown]
	v_fma_f64 v[20:21], v[10:11], s[16:17], v[8:9]
	v_mul_f64 v[38:39], v[0:1], s[46:47]
	v_add_f64 v[14:15], v[48:49], v[14:15]
	v_fma_f64 v[8:9], v[10:11], s[16:17], -v[8:9]
	v_fma_f64 v[10:11], v[2:3], s[34:35], v[6:7]
	v_mul_f64 v[48:49], v[0:1], s[30:31]
	v_fma_f64 v[6:7], v[2:3], s[34:35], -v[6:7]
	v_add_f64 v[32:33], v[50:51], v[32:33]
	v_add_f64 v[20:21], v[20:21], v[60:61]
	v_fma_f64 v[50:51], v[2:3], s[18:19], v[38:39]
	v_fma_f64 v[38:39], v[2:3], s[18:19], -v[38:39]
	v_mul_f64 v[60:61], v[0:1], s[48:49]
	v_add_f64 v[44:45], v[80:81], v[44:45]
	v_add_f64 v[8:9], v[8:9], v[12:13]
	v_fma_f64 v[12:13], v[2:3], s[28:29], v[48:49]
	v_add_f64 v[6:7], v[6:7], v[22:23]
	v_fma_f64 v[22:23], v[2:3], s[28:29], -v[48:49]
	v_add_f64 v[36:37], v[68:69], v[36:37]
	v_add_f64 v[26:27], v[38:39], v[26:27]
	v_fma_f64 v[38:39], v[2:3], s[14:15], v[60:61]
	v_mul_f64 v[48:49], v[0:1], s[24:25]
	v_add_f64 v[10:11], v[10:11], v[46:47]
	v_fma_f64 v[46:47], v[2:3], s[14:15], -v[60:61]
	v_add_f64 v[12:13], v[12:13], v[44:45]
	v_mul_f64 v[44:45], v[0:1], s[36:37]
	v_add_f64 v[22:23], v[22:23], v[24:25]
	v_mul_f64 v[24:25], v[0:1], s[20:21]
	v_mul_f64 v[0:1], v[0:1], s[44:45]
	v_add_f64 v[36:37], v[38:39], v[36:37]
	v_fma_f64 v[38:39], v[2:3], s[22:23], v[48:49]
	v_add_f64 v[42:43], v[50:51], v[42:43]
	v_add_f64 v[16:17], v[46:47], v[16:17]
	v_fma_f64 v[46:47], v[2:3], s[22:23], -v[48:49]
	v_fma_f64 v[48:49], v[2:3], s[0:1], v[44:45]
	v_fma_f64 v[50:51], v[2:3], s[16:17], v[24:25]
	;; [unrolled: 1-line block ×3, first 2 shown]
	v_fma_f64 v[0:1], v[2:3], s[8:9], -v[0:1]
	v_fma_f64 v[44:45], v[2:3], s[0:1], -v[44:45]
	;; [unrolled: 1-line block ×3, first 2 shown]
	v_add_f64 v[24:25], v[38:39], v[34:35]
	v_add_f64 v[34:35], v[46:47], v[40:41]
	;; [unrolled: 1-line block ×8, first 2 shown]
	s_movk_i32 s0, 0x88
	v_mad_u32_u24 v8, v121, s0, 0
	ds_write2_b64 v8, v[30:31], v[10:11] offset1:1
	ds_write2_b64 v8, v[42:43], v[12:13] offset0:2 offset1:3
	ds_write2_b64 v8, v[36:37], v[24:25] offset0:4 offset1:5
	;; [unrolled: 1-line block ×7, first 2 shown]
	ds_write_b64 v8, v[6:7] offset:128
.LBB0_19:
	s_or_b64 exec, exec, s[6:7]
	s_movk_i32 s0, 0xf1
	v_mul_lo_u16_sdwa v0, v174, s0 dst_sel:DWORD dst_unused:UNUSED_PAD src0_sel:BYTE_0 src1_sel:DWORD
	v_lshrrev_b16_e32 v0, 12, v0
	v_mul_lo_u16_e32 v1, 17, v0
	v_sub_u16_e32 v1, v174, v1
	v_mov_b32_e32 v20, 5
	v_lshlrev_b32_sdwa v2, v20, v1 dst_sel:DWORD dst_unused:UNUSED_PAD src0_sel:DWORD src1_sel:BYTE_0
	s_waitcnt lgkmcnt(0)
	; wave barrier
	s_waitcnt lgkmcnt(0)
	global_load_dwordx4 v[8:11], v2, s[12:13] offset:16
	global_load_dwordx4 v[12:15], v2, s[12:13]
	v_mul_lo_u16_sdwa v2, v121, s0 dst_sel:DWORD dst_unused:UNUSED_PAD src0_sel:BYTE_0 src1_sel:DWORD
	v_lshrrev_b16_e32 v2, 12, v2
	v_mul_lo_u16_e32 v3, 17, v2
	v_sub_u16_e32 v3, v121, v3
	v_lshlrev_b32_sdwa v4, v20, v3 dst_sel:DWORD dst_unused:UNUSED_PAD src0_sel:DWORD src1_sel:BYTE_0
	v_add_u32_e32 v80, 0x66, v174
	global_load_dwordx4 v[16:19], v4, s[12:13] offset:16
	global_load_dwordx4 v[30:33], v4, s[12:13]
	v_mul_lo_u16_sdwa v4, v80, s0 dst_sel:DWORD dst_unused:UNUSED_PAD src0_sel:BYTE_0 src1_sel:DWORD
	v_lshrrev_b16_e32 v4, 12, v4
	v_mul_lo_u16_e32 v5, 17, v4
	v_sub_u16_e32 v5, v80, v5
	v_add_u32_e32 v81, 0x99, v174
	v_lshlrev_b32_sdwa v6, v20, v5 dst_sel:DWORD dst_unused:UNUSED_PAD src0_sel:DWORD src1_sel:BYTE_0
	global_load_dwordx4 v[34:37], v6, s[12:13] offset:16
	global_load_dwordx4 v[38:41], v6, s[12:13]
	v_mul_lo_u16_sdwa v6, v81, s0 dst_sel:DWORD dst_unused:UNUSED_PAD src0_sel:BYTE_0 src1_sel:DWORD
	v_lshrrev_b16_e32 v6, 12, v6
	v_mul_lo_u16_e32 v7, 17, v6
	v_sub_u16_e32 v7, v81, v7
	v_lshlrev_b32_sdwa v21, v20, v7 dst_sel:DWORD dst_unused:UNUSED_PAD src0_sel:DWORD src1_sel:BYTE_0
	global_load_dwordx4 v[42:45], v21, s[12:13] offset:16
	global_load_dwordx4 v[46:49], v21, s[12:13]
	v_add_u32_e32 v22, 0xcc, v174
	v_mul_lo_u16_sdwa v21, v22, s0 dst_sel:DWORD dst_unused:UNUSED_PAD src0_sel:BYTE_0 src1_sel:DWORD
	v_lshrrev_b16_e32 v215, 12, v21
	v_mul_lo_u16_e32 v21, 17, v215
	v_sub_u16_e32 v216, v22, v21
	v_lshlrev_b32_sdwa v20, v20, v216 dst_sel:DWORD dst_unused:UNUSED_PAD src0_sel:DWORD src1_sel:BYTE_0
	global_load_dwordx4 v[60:63], v20, s[12:13] offset:16
	global_load_dwordx4 v[68:71], v20, s[12:13]
	v_add_u32_e32 v23, 0xff, v174
	s_mov_b32 s0, 0xf0f1
	v_mul_u32_u24_sdwa v20, v23, s0 dst_sel:DWORD dst_unused:UNUSED_PAD src0_sel:WORD_0 src1_sel:DWORD
	v_lshrrev_b32_e32 v217, 20, v20
	v_mul_lo_u16_e32 v20, 17, v217
	v_sub_u16_e32 v218, v23, v20
	v_lshlrev_b32_e32 v20, 5, v218
	v_add_u32_e32 v24, 0x132, v174
	global_load_dwordx4 v[82:85], v20, s[12:13]
	global_load_dwordx4 v[128:131], v20, s[12:13] offset:16
	v_mul_u32_u24_sdwa v20, v24, s0 dst_sel:DWORD dst_unused:UNUSED_PAD src0_sel:WORD_0 src1_sel:DWORD
	v_lshrrev_b32_e32 v219, 20, v20
	v_mul_lo_u16_e32 v20, 17, v219
	v_sub_u16_e32 v220, v24, v20
	v_add_u32_e32 v25, 0x165, v174
	v_lshlrev_b32_e32 v20, 5, v220
	global_load_dwordx4 v[132:135], v20, s[12:13] offset:16
	global_load_dwordx4 v[140:143], v20, s[12:13]
	v_mul_u32_u24_sdwa v20, v25, s0 dst_sel:DWORD dst_unused:UNUSED_PAD src0_sel:WORD_0 src1_sel:DWORD
	v_lshrrev_b32_e32 v221, 20, v20
	v_mul_lo_u16_e32 v20, 17, v221
	v_sub_u16_e32 v222, v25, v20
	v_lshlrev_b32_e32 v20, 5, v222
	global_load_dwordx4 v[144:147], v20, s[12:13]
	global_load_dwordx4 v[148:151], v20, s[12:13] offset:16
	v_add_u32_e32 v26, 0x198, v174
	v_mul_u32_u24_sdwa v20, v26, s0 dst_sel:DWORD dst_unused:UNUSED_PAD src0_sel:WORD_0 src1_sel:DWORD
	v_lshrrev_b32_e32 v223, 20, v20
	v_mul_lo_u16_e32 v20, 17, v223
	v_sub_u16_e32 v224, v26, v20
	v_lshlrev_b32_e32 v20, 5, v224
	global_load_dwordx4 v[152:155], v20, s[12:13]
	global_load_dwordx4 v[156:159], v20, s[12:13] offset:16
	ds_read2_b64 v[160:163], v120 offset1:51
	ds_read2_b64 v[164:167], v123 offset0:152 offset1:203
	ds_read2_b64 v[168:171], v122 offset0:150 offset1:201
	;; [unrolled: 1-line block ×12, first 2 shown]
	ds_read_b64 v[172:173], v120 offset:10608
	s_mov_b32 s6, 0xe8584caa
	s_mov_b32 s7, 0x3febb67a
	;; [unrolled: 1-line block ×4, first 2 shown]
	v_mul_u32_u24_e32 v0, 0x198, v0
	s_waitcnt lgkmcnt(0)
	; wave barrier
	s_waitcnt lgkmcnt(0)
	s_mov_b32 s28, 0x523c161c
	s_mov_b32 s29, 0x3fe491b7
	;; [unrolled: 1-line block ×12, first 2 shown]
	s_waitcnt vmcnt(17)
	v_mul_f64 v[50:51], v[168:169], v[10:11]
	s_waitcnt vmcnt(16)
	v_mul_f64 v[20:21], v[166:167], v[14:15]
	v_mul_f64 v[14:15], v[54:55], v[14:15]
	;; [unrolled: 1-line block ×3, first 2 shown]
	s_mov_b32 s27, s9
	s_mov_b32 s22, 0x42522d1b
	;; [unrolled: 1-line block ×3, first 2 shown]
	s_waitcnt vmcnt(14)
	v_mul_f64 v[86:87], v[175:176], v[32:33]
	v_mul_f64 v[32:33], v[112:113], v[32:33]
	v_fma_f64 v[20:21], v[54:55], v[12:13], -v[20:21]
	v_fma_f64 v[12:13], v[166:167], v[12:13], v[14:15]
	v_mul_f64 v[14:15], v[170:171], v[18:19]
	v_mul_f64 v[18:19], v[118:119], v[18:19]
	v_fma_f64 v[50:51], v[116:117], v[8:9], -v[50:51]
	v_fma_f64 v[8:9], v[168:169], v[8:9], v[10:11]
	v_fma_f64 v[10:11], v[112:113], v[30:31], -v[86:87]
	v_fma_f64 v[30:31], v[175:176], v[30:31], v[32:33]
	s_waitcnt vmcnt(12)
	v_mul_f64 v[32:33], v[177:178], v[40:41]
	v_mul_f64 v[40:41], v[114:115], v[40:41]
	v_fma_f64 v[14:15], v[118:119], v[16:17], -v[14:15]
	v_mul_f64 v[54:55], v[183:184], v[36:37]
	v_mul_f64 v[36:37], v[108:109], v[36:37]
	s_waitcnt vmcnt(10)
	v_mul_f64 v[86:87], v[187:188], v[48:49]
	v_fma_f64 v[16:17], v[170:171], v[16:17], v[18:19]
	v_mul_f64 v[18:19], v[104:105], v[48:49]
	v_fma_f64 v[32:33], v[114:115], v[38:39], -v[32:33]
	v_fma_f64 v[38:39], v[177:178], v[38:39], v[40:41]
	v_mul_f64 v[40:41], v[185:186], v[44:45]
	v_fma_f64 v[48:49], v[108:109], v[34:35], -v[54:55]
	v_fma_f64 v[34:35], v[183:184], v[34:35], v[36:37]
	v_fma_f64 v[36:37], v[104:105], v[46:47], -v[86:87]
	v_mul_f64 v[44:45], v[110:111], v[44:45]
	v_fma_f64 v[18:19], v[187:188], v[46:47], v[18:19]
	s_waitcnt vmcnt(8)
	v_mul_f64 v[46:47], v[189:190], v[70:71]
	v_mul_f64 v[54:55], v[106:107], v[70:71]
	v_fma_f64 v[40:41], v[110:111], v[42:43], -v[40:41]
	v_mul_f64 v[70:71], v[195:196], v[62:63]
	v_mul_f64 v[62:63], v[100:101], v[62:63]
	s_waitcnt vmcnt(7)
	v_mul_f64 v[86:87], v[199:200], v[84:85]
	v_fma_f64 v[42:43], v[185:186], v[42:43], v[44:45]
	v_mul_f64 v[44:45], v[96:97], v[84:85]
	v_fma_f64 v[46:47], v[106:107], v[68:69], -v[46:47]
	v_fma_f64 v[54:55], v[189:190], v[68:69], v[54:55]
	s_waitcnt vmcnt(6)
	v_mul_f64 v[68:69], v[197:198], v[130:131]
	v_fma_f64 v[70:71], v[100:101], v[60:61], -v[70:71]
	v_fma_f64 v[60:61], v[195:196], v[60:61], v[62:63]
	v_fma_f64 v[62:63], v[96:97], v[82:83], -v[86:87]
	v_mul_f64 v[84:85], v[102:103], v[130:131]
	v_fma_f64 v[44:45], v[199:200], v[82:83], v[44:45]
	s_waitcnt vmcnt(4)
	v_mul_f64 v[82:83], v[201:202], v[142:143]
	s_waitcnt vmcnt(3)
	v_mul_f64 v[104:105], v[88:89], v[146:147]
	v_fma_f64 v[68:69], v[102:103], v[128:129], -v[68:69]
	v_mul_f64 v[102:103], v[211:212], v[146:147]
	v_mul_f64 v[86:87], v[98:99], v[142:143]
	;; [unrolled: 1-line block ×4, first 2 shown]
	v_add_f64 v[106:107], v[20:21], v[50:51]
	v_fma_f64 v[82:83], v[98:99], v[140:141], -v[82:83]
	s_waitcnt vmcnt(2)
	v_mul_f64 v[98:99], v[209:210], v[150:151]
	s_waitcnt vmcnt(0)
	v_mul_f64 v[108:109], v[172:173], v[158:159]
	v_fma_f64 v[88:89], v[88:89], v[144:145], -v[102:103]
	v_fma_f64 v[102:103], v[211:212], v[144:145], v[104:105]
	v_mul_f64 v[104:105], v[213:214], v[154:155]
	v_fma_f64 v[92:93], v[92:93], v[132:133], -v[96:97]
	v_fma_f64 v[96:97], v[207:208], v[132:133], v[100:101]
	v_mul_f64 v[100:101], v[94:95], v[150:151]
	v_fma_f64 v[94:95], v[94:95], v[148:149], -v[98:99]
	v_mul_f64 v[98:99], v[90:91], v[154:155]
	v_mul_f64 v[110:111], v[28:29], v[158:159]
	v_add_f64 v[112:113], v[76:77], v[20:21]
	v_fma_f64 v[90:91], v[90:91], v[152:153], -v[104:105]
	v_fma_f64 v[76:77], v[106:107], -0.5, v[76:77]
	v_add_f64 v[104:105], v[12:13], -v[8:9]
	v_fma_f64 v[27:28], v[28:29], v[156:157], -v[108:109]
	v_add_f64 v[108:109], v[12:13], v[8:9]
	v_add_f64 v[12:13], v[160:161], v[12:13]
	v_fma_f64 v[106:107], v[172:173], v[156:157], v[110:111]
	v_add_f64 v[110:111], v[112:113], v[50:51]
	v_add_f64 v[114:115], v[10:11], v[14:15]
	v_add_f64 v[20:21], v[20:21], -v[50:51]
	v_fma_f64 v[112:113], v[104:105], s[6:7], v[76:77]
	v_fma_f64 v[50:51], v[104:105], s[8:9], v[76:77]
	v_fma_f64 v[108:109], v[108:109], -0.5, v[160:161]
	v_add_f64 v[76:77], v[78:79], v[10:11]
	v_add_f64 v[12:13], v[12:13], v[8:9]
	;; [unrolled: 1-line block ×3, first 2 shown]
	v_fma_f64 v[78:79], v[114:115], -0.5, v[78:79]
	v_add_f64 v[104:105], v[30:31], -v[16:17]
	v_add_f64 v[10:11], v[10:11], -v[14:15]
	v_fma_f64 v[84:85], v[197:198], v[128:129], v[84:85]
	v_fma_f64 v[114:115], v[20:21], s[8:9], v[108:109]
	;; [unrolled: 1-line block ×3, first 2 shown]
	v_add_f64 v[20:21], v[162:163], v[30:31]
	v_add_f64 v[29:30], v[76:77], v[14:15]
	;; [unrolled: 1-line block ×3, first 2 shown]
	v_fma_f64 v[8:9], v[8:9], -0.5, v[162:163]
	v_fma_f64 v[14:15], v[104:105], s[6:7], v[78:79]
	v_fma_f64 v[78:79], v[104:105], s[8:9], v[78:79]
	v_add_f64 v[104:105], v[72:73], v[32:33]
	v_add_f64 v[31:32], v[32:33], -v[48:49]
	v_add_f64 v[116:117], v[20:21], v[16:17]
	v_add_f64 v[16:17], v[38:39], v[34:35]
	v_fma_f64 v[20:21], v[76:77], -0.5, v[72:73]
	v_fma_f64 v[76:77], v[10:11], s[8:9], v[8:9]
	v_fma_f64 v[118:119], v[10:11], s[6:7], v[8:9]
	v_add_f64 v[8:9], v[179:180], v[38:39]
	v_add_f64 v[72:73], v[38:39], -v[34:35]
	v_add_f64 v[10:11], v[104:105], v[48:49]
	v_add_f64 v[38:39], v[36:37], v[40:41]
	v_fma_f64 v[16:17], v[16:17], -0.5, v[179:180]
	v_fma_f64 v[86:87], v[201:202], v[140:141], v[86:87]
	v_fma_f64 v[100:101], v[209:210], v[148:149], v[100:101]
	v_fma_f64 v[98:99], v[213:214], v[152:153], v[98:99]
	v_add_f64 v[104:105], v[8:9], v[34:35]
	v_add_f64 v[8:9], v[18:19], v[42:43]
	v_fma_f64 v[48:49], v[72:73], s[6:7], v[20:21]
	v_fma_f64 v[20:21], v[72:73], s[8:9], v[20:21]
	v_add_f64 v[72:73], v[74:75], v[36:37]
	v_fma_f64 v[33:34], v[38:39], -0.5, v[74:75]
	v_add_f64 v[38:39], v[18:19], -v[42:43]
	v_fma_f64 v[74:75], v[31:32], s[8:9], v[16:17]
	v_fma_f64 v[128:129], v[31:32], s[6:7], v[16:17]
	v_add_f64 v[16:17], v[181:182], v[18:19]
	v_fma_f64 v[8:9], v[8:9], -0.5, v[181:182]
	v_add_f64 v[35:36], v[36:37], -v[40:41]
	v_add_f64 v[18:19], v[72:73], v[40:41]
	v_add_f64 v[31:32], v[46:47], v[70:71]
	v_fma_f64 v[40:41], v[38:39], s[6:7], v[33:34]
	v_fma_f64 v[33:34], v[38:39], s[8:9], v[33:34]
	v_add_f64 v[37:38], v[64:65], v[46:47]
	v_add_f64 v[72:73], v[16:17], v[42:43]
	;; [unrolled: 1-line block ×3, first 2 shown]
	v_fma_f64 v[130:131], v[35:36], s[8:9], v[8:9]
	v_fma_f64 v[132:133], v[35:36], s[6:7], v[8:9]
	v_add_f64 v[8:9], v[191:192], v[54:55]
	v_fma_f64 v[31:32], v[31:32], -0.5, v[64:65]
	v_add_f64 v[42:43], v[54:55], -v[60:61]
	v_add_f64 v[35:36], v[37:38], v[70:71]
	v_add_f64 v[37:38], v[62:63], v[68:69]
	v_fma_f64 v[16:17], v[16:17], -0.5, v[191:192]
	v_add_f64 v[46:47], v[46:47], -v[70:71]
	v_add_f64 v[64:65], v[88:89], v[94:95]
	v_add_f64 v[70:71], v[8:9], v[60:61]
	;; [unrolled: 1-line block ×3, first 2 shown]
	v_add_f64 v[60:61], v[44:45], -v[84:85]
	v_add_f64 v[44:45], v[193:194], v[44:45]
	v_fma_f64 v[54:55], v[42:43], s[6:7], v[31:32]
	v_fma_f64 v[31:32], v[42:43], s[8:9], v[31:32]
	v_add_f64 v[42:43], v[66:67], v[62:63]
	v_fma_f64 v[37:38], v[37:38], -0.5, v[66:67]
	v_fma_f64 v[134:135], v[46:47], s[8:9], v[16:17]
	v_fma_f64 v[140:141], v[46:47], s[6:7], v[16:17]
	v_fma_f64 v[8:9], v[8:9], -0.5, v[193:194]
	v_add_f64 v[46:47], v[62:63], -v[68:69]
	v_add_f64 v[84:85], v[44:45], v[84:85]
	v_add_f64 v[44:45], v[86:87], v[96:97]
	;; [unrolled: 1-line block ×4, first 2 shown]
	v_fma_f64 v[62:63], v[60:61], s[6:7], v[37:38]
	v_fma_f64 v[37:38], v[60:61], s[8:9], v[37:38]
	v_add_f64 v[60:61], v[56:57], v[82:83]
	v_fma_f64 v[142:143], v[46:47], s[8:9], v[8:9]
	v_fma_f64 v[144:145], v[46:47], s[6:7], v[8:9]
	v_add_f64 v[8:9], v[203:204], v[86:87]
	v_fma_f64 v[44:45], v[44:45], -0.5, v[203:204]
	v_add_f64 v[46:47], v[82:83], -v[92:93]
	v_fma_f64 v[42:43], v[42:43], -0.5, v[56:57]
	v_add_f64 v[56:57], v[86:87], -v[96:97]
	v_add_f64 v[60:61], v[60:61], v[92:93]
	v_add_f64 v[68:69], v[58:59], v[88:89]
	v_fma_f64 v[58:59], v[64:65], -0.5, v[58:59]
	v_add_f64 v[64:65], v[102:103], -v[100:101]
	v_add_f64 v[82:83], v[8:9], v[96:97]
	v_fma_f64 v[86:87], v[46:47], s[8:9], v[44:45]
	v_add_f64 v[8:9], v[102:103], v[100:101]
	v_fma_f64 v[92:93], v[46:47], s[6:7], v[44:45]
	;; [unrolled: 2-line block ×3, first 2 shown]
	v_fma_f64 v[42:43], v[56:57], s[8:9], v[42:43]
	v_add_f64 v[44:45], v[68:69], v[94:95]
	v_fma_f64 v[56:57], v[64:65], s[6:7], v[58:59]
	v_fma_f64 v[58:59], v[64:65], s[8:9], v[58:59]
	v_add_f64 v[64:65], v[98:99], v[106:107]
	v_add_f64 v[68:69], v[205:206], v[102:103]
	v_fma_f64 v[8:9], v[8:9], -0.5, v[205:206]
	v_add_f64 v[88:89], v[88:89], -v[94:95]
	v_add_f64 v[94:95], v[52:53], v[90:91]
	v_fma_f64 v[46:47], v[46:47], -0.5, v[52:53]
	v_add_f64 v[52:53], v[98:99], -v[106:107]
	v_mov_b32_e32 v39, 3
	v_lshlrev_b32_sdwa v1, v39, v1 dst_sel:DWORD dst_unused:UNUSED_PAD src0_sel:DWORD src1_sel:BYTE_0
	v_add3_u32 v102, 0, v0, v1
	v_mul_u32_u24_e32 v0, 0x198, v2
	v_lshlrev_b32_sdwa v1, v39, v3 dst_sel:DWORD dst_unused:UNUSED_PAD src0_sel:DWORD src1_sel:BYTE_0
	v_add_f64 v[96:97], v[164:165], v[98:99]
	v_fma_f64 v[64:65], v[64:65], -0.5, v[164:165]
	v_add_f64 v[90:91], v[90:91], -v[27:28]
	v_add_f64 v[98:99], v[68:69], v[100:101]
	v_fma_f64 v[100:101], v[88:89], s[8:9], v[8:9]
	v_fma_f64 v[88:89], v[88:89], s[6:7], v[8:9]
	v_add_f64 v[8:9], v[94:95], v[27:28]
	v_fma_f64 v[27:28], v[52:53], s[6:7], v[46:47]
	v_add3_u32 v103, 0, v0, v1
	v_mul_u32_u24_e32 v0, 0x198, v4
	v_lshlrev_b32_sdwa v1, v39, v5 dst_sel:DWORD dst_unused:UNUSED_PAD src0_sel:DWORD src1_sel:BYTE_0
	v_fma_f64 v[46:47], v[52:53], s[8:9], v[46:47]
	v_add3_u32 v4, 0, v0, v1
	v_mul_u32_u24_e32 v0, 0x198, v6
	v_lshlrev_b32_sdwa v1, v39, v7 dst_sel:DWORD dst_unused:UNUSED_PAD src0_sel:DWORD src1_sel:BYTE_0
	v_add3_u32 v5, 0, v0, v1
	v_mul_u32_u24_e32 v0, 0x198, v215
	v_lshlrev_b32_sdwa v1, v39, v216 dst_sel:DWORD dst_unused:UNUSED_PAD src0_sel:DWORD src1_sel:BYTE_0
	v_add3_u32 v6, 0, v0, v1
	v_mul_u32_u24_e32 v0, 0x198, v217
	v_lshlrev_b32_e32 v1, 3, v218
	v_add3_u32 v7, 0, v0, v1
	v_mul_u32_u24_e32 v0, 0x198, v219
	v_lshlrev_b32_e32 v1, 3, v220
	ds_write2_b64 v102, v[110:111], v[112:113] offset1:17
	ds_write_b64 v102, v[50:51] offset:272
	ds_write2_b64 v103, v[29:30], v[14:15] offset1:17
	ds_write_b64 v103, v[78:79] offset:272
	v_add3_u32 v14, 0, v0, v1
	v_mul_u32_u24_e32 v0, 0x198, v221
	v_lshlrev_b32_e32 v1, 3, v222
	v_add3_u32 v15, 0, v0, v1
	v_mul_u32_u24_e32 v0, 0x198, v223
	v_lshlrev_b32_e32 v1, 3, v224
	ds_write2_b64 v4, v[10:11], v[48:49] offset1:17
	ds_write_b64 v4, v[20:21] offset:272
	ds_write2_b64 v5, v[18:19], v[40:41] offset1:17
	ds_write_b64 v5, v[33:34] offset:272
	;; [unrolled: 2-line block ×3, first 2 shown]
	v_add3_u32 v36, 0, v0, v1
	v_add_f64 v[94:95], v[96:97], v[106:107]
	v_fma_f64 v[96:97], v[90:91], s[8:9], v[64:65]
	v_fma_f64 v[90:91], v[90:91], s[6:7], v[64:65]
	ds_write2_b64 v7, v[16:17], v[62:63] offset1:17
	ds_write_b64 v7, v[37:38] offset:272
	ds_write2_b64 v14, v[60:61], v[66:67] offset1:17
	ds_write_b64 v14, v[42:43] offset:272
	;; [unrolled: 2-line block ×4, first 2 shown]
	s_waitcnt lgkmcnt(0)
	; wave barrier
	s_waitcnt lgkmcnt(0)
	ds_read2_b64 v[8:11], v120 offset1:51
	ds_read2_b64 v[0:3], v120 offset0:102 offset1:153
	ds_read2_b64 v[18:21], v123 offset0:50 offset1:101
	;; [unrolled: 1-line block ×12, first 2 shown]
	ds_read_b64 v[16:17], v120 offset:10608
	s_waitcnt lgkmcnt(0)
	; wave barrier
	s_waitcnt lgkmcnt(0)
	ds_write2_b64 v102, v[12:13], v[114:115] offset1:17
	ds_write_b64 v102, v[108:109] offset:272
	ds_write2_b64 v103, v[116:117], v[76:77] offset1:17
	ds_write_b64 v103, v[118:119] offset:272
	;; [unrolled: 2-line block ×9, first 2 shown]
	v_lshlrev_b32_e32 v36, 3, v174
	v_mov_b32_e32 v37, 0
	v_lshlrev_b64 v[4:5], 4, v[36:37]
	v_mov_b32_e32 v6, s13
	v_add_co_u32_e64 v4, s[0:1], s12, v4
	v_addc_co_u32_e64 v5, s[0:1], v6, v5, s[0:1]
	s_waitcnt lgkmcnt(0)
	; wave barrier
	s_waitcnt lgkmcnt(0)
	global_load_dwordx4 v[70:73], v[4:5], off offset:544
	global_load_dwordx4 v[74:77], v[4:5], off offset:560
	;; [unrolled: 1-line block ×8, first 2 shown]
	s_movk_i32 s0, 0xa1
	v_mul_lo_u16_sdwa v27, v80, s0 dst_sel:DWORD dst_unused:UNUSED_PAD src0_sel:BYTE_0 src1_sel:DWORD
	v_lshrrev_b16_e32 v27, 13, v27
	v_mul_lo_u16_e32 v27, 51, v27
	v_sub_u16_e32 v27, v80, v27
	v_and_b32_e32 v27, 0xff, v27
	v_lshlrev_b32_e32 v36, 7, v27
	ds_read2_b64 v[12:15], v120 offset1:51
	ds_read2_b64 v[4:7], v120 offset0:102 offset1:153
	ds_read2_b64 v[106:109], v123 offset0:50 offset1:101
	global_load_dwordx4 v[110:113], v36, s[12:13] offset:560
	global_load_dwordx4 v[114:117], v36, s[12:13] offset:544
	ds_read2_b64 v[128:131], v123 offset0:152 offset1:203
	ds_read2_b64 v[132:135], v125 offset0:100 offset1:151
	global_load_dwordx4 v[140:143], v36, s[12:13] offset:592
	global_load_dwordx4 v[144:147], v36, s[12:13] offset:576
	ds_read2_b64 v[148:151], v125 offset0:202 offset1:253
	ds_read2_b64 v[152:155], v122 offset0:150 offset1:201
	;; [unrolled: 1-line block ×7, first 2 shown]
	global_load_dwordx4 v[179:182], v36, s[12:13] offset:624
	global_load_dwordx4 v[183:186], v36, s[12:13] offset:608
	;; [unrolled: 1-line block ×4, first 2 shown]
	ds_read2_b64 v[195:198], v126 offset0:98 offset1:149
	ds_read_b64 v[205:206], v120 offset:10608
	s_mov_b32 s0, 0xe8584cab
	s_mov_b32 s1, s7
	;; [unrolled: 1-line block ×3, first 2 shown]
	s_waitcnt lgkmcnt(0)
	; wave barrier
	s_waitcnt vmcnt(15) lgkmcnt(0)
	v_mul_f64 v[78:79], v[6:7], v[72:73]
	s_waitcnt vmcnt(14)
	v_mul_f64 v[172:173], v[106:107], v[76:77]
	v_mul_f64 v[199:200], v[18:19], v[76:77]
	s_waitcnt vmcnt(13)
	v_mul_f64 v[201:202], v[130:131], v[84:85]
	v_mul_f64 v[118:119], v[2:3], v[72:73]
	;; [unrolled: 1-line block ×3, first 2 shown]
	s_waitcnt vmcnt(9)
	v_mul_f64 v[207:208], v[158:159], v[100:101]
	v_mul_f64 v[209:210], v[48:49], v[100:101]
	v_fma_f64 v[78:79], v[2:3], v[70:71], -v[78:79]
	v_fma_f64 v[172:173], v[18:19], v[74:75], -v[172:173]
	v_fma_f64 v[106:107], v[106:107], v[74:75], v[199:200]
	v_fma_f64 v[30:31], v[30:31], v[82:83], -v[201:202]
	v_mul_f64 v[2:3], v[132:133], v[88:89]
	v_mul_f64 v[18:19], v[150:151], v[92:93]
	;; [unrolled: 1-line block ×4, first 2 shown]
	v_fma_f64 v[118:119], v[6:7], v[70:71], v[118:119]
	v_fma_f64 v[130:131], v[130:131], v[82:83], v[203:204]
	v_mul_f64 v[6:7], v[32:33], v[88:89]
	v_mul_f64 v[203:204], v[42:43], v[96:97]
	v_fma_f64 v[32:33], v[32:33], v[86:87], -v[2:3]
	v_fma_f64 v[40:41], v[40:41], v[90:91], -v[18:19]
	v_fma_f64 v[150:151], v[150:151], v[90:91], v[199:200]
	v_fma_f64 v[42:43], v[42:43], v[94:95], -v[201:202]
	s_waitcnt vmcnt(8)
	v_mul_f64 v[2:3], v[160:161], v[104:105]
	v_mul_f64 v[18:19], v[164:165], v[72:73]
	;; [unrolled: 1-line block ×7, first 2 shown]
	v_fma_f64 v[132:133], v[132:133], v[86:87], v[6:7]
	v_mul_f64 v[6:7], v[50:51], v[104:105]
	v_fma_f64 v[50:51], v[50:51], v[102:103], -v[2:3]
	v_fma_f64 v[54:55], v[54:55], v[70:71], -v[18:19]
	v_fma_f64 v[70:71], v[164:165], v[70:71], v[72:73]
	v_fma_f64 v[72:73], v[20:21], v[74:75], -v[199:200]
	v_fma_f64 v[74:75], v[108:109], v[74:75], v[76:77]
	;; [unrolled: 2-line block ×3, first 2 shown]
	v_mul_f64 v[2:3], v[134:135], v[88:89]
	v_mul_f64 v[82:83], v[154:155], v[96:97]
	;; [unrolled: 1-line block ×3, first 2 shown]
	v_fma_f64 v[152:153], v[152:153], v[94:95], v[203:204]
	v_fma_f64 v[160:161], v[160:161], v[102:103], v[6:7]
	v_mul_f64 v[6:7], v[34:35], v[88:89]
	v_mul_f64 v[18:19], v[175:176], v[92:93]
	v_mul_f64 v[20:21], v[62:63], v[92:93]
	v_mul_f64 v[88:89], v[195:196], v[100:101]
	v_mul_f64 v[92:93], v[66:67], v[100:101]
	v_fma_f64 v[34:35], v[34:35], v[86:87], -v[2:3]
	v_fma_f64 v[44:45], v[44:45], v[94:95], -v[82:83]
	v_fma_f64 v[82:83], v[154:155], v[94:95], v[84:85]
	v_mul_f64 v[2:3], v[162:163], v[104:105]
	s_waitcnt vmcnt(4)
	v_mul_f64 v[94:95], v[170:171], v[146:147]
	v_fma_f64 v[86:87], v[134:135], v[86:87], v[6:7]
	v_fma_f64 v[62:63], v[62:63], v[90:91], -v[18:19]
	v_fma_f64 v[66:67], v[66:67], v[98:99], -v[88:89]
	v_fma_f64 v[84:85], v[195:196], v[98:99], v[92:93]
	v_mul_f64 v[6:7], v[52:53], v[104:105]
	v_mul_f64 v[18:19], v[166:167], v[116:117]
	;; [unrolled: 1-line block ×5, first 2 shown]
	v_fma_f64 v[52:53], v[52:53], v[102:103], -v[2:3]
	v_fma_f64 v[60:61], v[60:61], v[144:145], -v[94:95]
	v_mul_f64 v[2:3], v[148:149], v[142:143]
	s_waitcnt vmcnt(2)
	v_mul_f64 v[94:95], v[177:178], v[185:186]
	v_fma_f64 v[48:49], v[48:49], v[98:99], -v[207:208]
	v_fma_f64 v[158:159], v[158:159], v[98:99], v[209:210]
	v_fma_f64 v[90:91], v[175:176], v[90:91], v[20:21]
	v_mul_f64 v[20:21], v[56:57], v[116:117]
	v_fma_f64 v[98:99], v[162:163], v[102:103], v[6:7]
	v_fma_f64 v[56:57], v[56:57], v[114:115], -v[18:19]
	v_fma_f64 v[28:29], v[28:29], v[110:111], -v[88:89]
	v_fma_f64 v[88:89], v[128:129], v[110:111], v[92:93]
	v_fma_f64 v[92:93], v[170:171], v[144:145], v[96:97]
	v_mul_f64 v[6:7], v[38:39], v[142:143]
	v_mul_f64 v[96:97], v[64:65], v[185:186]
	s_waitcnt vmcnt(0)
	v_mul_f64 v[108:109], v[197:198], v[193:194]
	v_fma_f64 v[18:19], v[38:39], v[140:141], -v[2:3]
	v_fma_f64 v[2:3], v[64:65], v[183:184], -v[94:95]
	v_add_f64 v[94:95], v[78:79], -v[50:51]
	v_fma_f64 v[100:101], v[166:167], v[114:115], v[20:21]
	v_mul_f64 v[110:111], v[68:69], v[193:194]
	v_fma_f64 v[20:21], v[148:149], v[140:141], v[6:7]
	v_fma_f64 v[6:7], v[177:178], v[183:184], v[96:97]
	v_fma_f64 v[64:65], v[68:69], v[191:192], -v[108:109]
	v_add_f64 v[96:97], v[118:119], -v[160:161]
	v_add_f64 v[108:109], v[172:173], -v[48:49]
	v_mul_f64 v[112:113], v[94:95], s[28:29]
	v_add_f64 v[128:129], v[32:33], -v[40:41]
	v_add_f64 v[142:143], v[32:33], v[40:41]
	v_add_f64 v[144:145], v[132:133], v[150:151]
	v_fma_f64 v[68:69], v[197:198], v[191:192], v[110:111]
	v_add_f64 v[110:111], v[106:107], -v[158:159]
	v_mul_f64 v[114:115], v[96:97], s[28:29]
	v_add_f64 v[50:51], v[78:79], v[50:51]
	v_add_f64 v[78:79], v[118:119], v[160:161]
	v_add_f64 v[116:117], v[30:31], -v[42:43]
	v_add_f64 v[118:119], v[130:131], -v[152:153]
	v_fma_f64 v[112:113], v[108:109], s[16:17], v[112:113]
	v_add_f64 v[30:31], v[30:31], v[42:43]
	v_add_f64 v[42:43], v[130:131], v[152:153]
	v_add_f64 v[130:131], v[132:133], -v[150:151]
	v_mul_f64 v[146:147], v[128:129], s[24:25]
	v_fma_f64 v[152:153], v[142:143], s[18:19], v[8:9]
	v_fma_f64 v[154:155], v[144:145], s[18:19], v[12:13]
	v_mul_f64 v[102:103], v[156:157], v[181:182]
	v_mul_f64 v[104:105], v[46:47], v[181:182]
	v_fma_f64 v[114:115], v[110:111], s[16:17], v[114:115]
	v_add_f64 v[48:49], v[172:173], v[48:49]
	v_fma_f64 v[112:113], v[116:117], s[0:1], v[112:113]
	v_fma_f64 v[134:135], v[50:51], s[18:19], v[8:9]
	v_mul_f64 v[148:149], v[130:131], s[24:25]
	v_fma_f64 v[146:147], v[94:95], s[16:17], v[146:147]
	v_fma_f64 v[152:153], v[50:51], s[20:21], v[152:153]
	;; [unrolled: 1-line block ×3, first 2 shown]
	v_fma_f64 v[38:39], v[46:47], v[179:180], -v[102:103]
	v_fma_f64 v[46:47], v[156:157], v[179:180], v[104:105]
	v_add_f64 v[106:107], v[106:107], v[158:159]
	v_fma_f64 v[114:115], v[118:119], s[0:1], v[114:115]
	v_fma_f64 v[140:141], v[78:79], s[18:19], v[12:13]
	;; [unrolled: 1-line block ×6, first 2 shown]
	v_fma_f64 v[152:153], v[30:31], -0.5, v[152:153]
	v_fma_f64 v[154:155], v[42:43], -0.5, v[154:155]
	v_add_f64 v[156:157], v[128:129], v[94:95]
	v_add_f64 v[162:163], v[48:49], v[50:51]
	v_mul_f64 v[128:129], v[128:129], s[16:17]
	v_fma_f64 v[114:115], v[130:131], s[14:15], v[114:115]
	v_fma_f64 v[140:141], v[106:107], s[20:21], v[140:141]
	v_fma_f64 v[134:135], v[30:31], -0.5, v[134:135]
	v_fma_f64 v[148:149], v[118:119], s[26:27], v[148:149]
	v_add_f64 v[158:159], v[130:131], v[96:97]
	v_fma_f64 v[146:147], v[108:109], s[14:15], v[146:147]
	v_fma_f64 v[152:153], v[48:49], s[22:23], v[152:153]
	;; [unrolled: 1-line block ×3, first 2 shown]
	v_add_f64 v[156:157], v[156:157], -v[108:109]
	v_add_f64 v[164:165], v[106:107], v[78:79]
	v_mul_f64 v[130:131], v[130:131], s[16:17]
	v_fma_f64 v[48:49], v[48:49], s[18:19], v[8:9]
	v_fma_f64 v[106:107], v[106:107], s[18:19], v[12:13]
	v_fma_f64 v[108:109], v[108:109], s[24:25], -v[128:129]
	v_add_f64 v[128:129], v[30:31], v[162:163]
	v_fma_f64 v[134:135], v[142:143], s[22:23], v[134:135]
	v_fma_f64 v[148:149], v[110:111], s[14:15], v[148:149]
	v_add_f64 v[158:159], v[158:159], -v[110:111]
	v_fma_f64 v[110:111], v[110:111], s[24:25], -v[130:131]
	v_add_f64 v[130:131], v[42:43], v[164:165]
	v_fma_f64 v[48:49], v[142:143], s[20:21], v[48:49]
	v_fma_f64 v[106:107], v[144:145], s[20:21], v[106:107]
	v_add_f64 v[32:33], v[32:33], v[128:129]
	v_mul_f64 v[102:103], v[205:206], v[189:190]
	v_mul_f64 v[104:105], v[16:17], v[189:190]
	v_fma_f64 v[140:141], v[42:43], -0.5, v[140:141]
	v_add_f64 v[134:135], v[114:115], v[134:135]
	v_add_f64 v[166:167], v[8:9], v[30:31]
	;; [unrolled: 1-line block ×3, first 2 shown]
	v_fma_f64 v[108:109], v[116:117], s[0:1], v[108:109]
	v_fma_f64 v[110:111], v[118:119], s[0:1], v[110:111]
	v_add_f64 v[116:117], v[132:133], v[130:131]
	v_fma_f64 v[30:31], v[30:31], -0.5, v[48:49]
	v_fma_f64 v[42:43], v[42:43], -0.5, v[106:107]
	v_add_f64 v[32:33], v[40:41], v[32:33]
	v_fma_f64 v[16:17], v[16:17], v[187:188], -v[102:103]
	v_fma_f64 v[102:103], v[205:206], v[187:188], v[104:105]
	v_fma_f64 v[104:105], v[114:115], -2.0, v[134:135]
	v_add_f64 v[114:115], v[148:149], v[152:153]
	v_add_f64 v[170:171], v[142:143], v[162:163]
	;; [unrolled: 1-line block ×3, first 2 shown]
	v_fma_f64 v[94:95], v[94:95], s[14:15], v[108:109]
	v_fma_f64 v[96:97], v[96:97], s[14:15], v[110:111]
	v_add_f64 v[40:41], v[150:151], v[116:117]
	v_fma_f64 v[30:31], v[50:51], s[22:23], v[30:31]
	v_fma_f64 v[42:43], v[78:79], s[22:23], v[42:43]
	v_add_f64 v[8:9], v[8:9], v[32:33]
	v_add_f64 v[32:33], v[54:55], v[52:53]
	;; [unrolled: 1-line block ×4, first 2 shown]
	v_add_f64 v[52:53], v[54:55], -v[52:53]
	v_add_f64 v[54:55], v[70:71], -v[98:99]
	;; [unrolled: 1-line block ×4, first 2 shown]
	v_add_f64 v[76:77], v[34:35], v[62:63]
	v_add_f64 v[82:83], v[86:87], v[90:91]
	v_fma_f64 v[140:141], v[144:145], s[22:23], v[140:141]
	v_add_f64 v[152:153], v[154:155], -v[146:147]
	v_fma_f64 v[142:143], v[170:171], -0.5, v[166:167]
	v_fma_f64 v[144:145], v[172:173], -0.5, v[168:169]
	;; [unrolled: 1-line block ×3, first 2 shown]
	v_add_f64 v[116:117], v[12:13], v[40:41]
	v_add_f64 v[12:13], v[96:97], v[30:31]
	v_add_f64 v[30:31], v[42:43], -v[94:95]
	v_add_f64 v[40:41], v[70:71], v[98:99]
	v_add_f64 v[42:43], v[72:73], v[66:67]
	v_add_f64 v[118:119], v[74:75], v[84:85]
	v_add_f64 v[66:67], v[72:73], -v[66:67]
	v_add_f64 v[70:71], v[74:75], -v[84:85]
	;; [unrolled: 1-line block ×4, first 2 shown]
	v_mul_f64 v[84:85], v[52:53], s[28:29]
	v_mul_f64 v[98:99], v[54:55], s[28:29]
	v_fma_f64 v[148:149], v[76:77], s[18:19], v[10:11]
	v_fma_f64 v[150:151], v[82:83], s[18:19], v[14:15]
	v_mul_f64 v[160:161], v[158:159], s[0:1]
	v_fma_f64 v[48:49], v[158:159], s[0:1], v[142:143]
	v_fma_f64 v[106:107], v[156:157], s[26:27], v[144:145]
	v_fma_f64 v[78:79], v[146:147], 2.0, v[152:153]
	v_mul_f64 v[144:145], v[72:73], s[24:25]
	v_mul_f64 v[146:147], v[74:75], s[24:25]
	v_fma_f64 v[84:85], v[66:67], s[16:17], v[84:85]
	v_fma_f64 v[98:99], v[70:71], s[16:17], v[98:99]
	;; [unrolled: 1-line block ×4, first 2 shown]
	v_mul_f64 v[154:155], v[156:157], s[0:1]
	v_fma_f64 v[108:109], v[160:161], -2.0, v[48:49]
	v_fma_f64 v[132:133], v[32:33], s[18:19], v[10:11]
	v_fma_f64 v[142:143], v[40:41], s[18:19], v[14:15]
	;; [unrolled: 1-line block ×6, first 2 shown]
	v_fma_f64 v[148:149], v[128:129], -0.5, v[148:149]
	v_fma_f64 v[150:151], v[130:131], -0.5, v[150:151]
	v_add_f64 v[158:159], v[42:43], v[32:33]
	v_add_f64 v[160:161], v[118:119], v[40:41]
	v_fma_f64 v[110:111], v[154:155], 2.0, v[106:107]
	v_fma_f64 v[132:133], v[42:43], s[20:21], v[132:133]
	v_fma_f64 v[142:143], v[118:119], s[20:21], v[142:143]
	;; [unrolled: 1-line block ×8, first 2 shown]
	v_add_f64 v[154:155], v[72:73], v[52:53]
	v_add_f64 v[156:157], v[74:75], v[54:55]
	;; [unrolled: 1-line block ×4, first 2 shown]
	v_mul_f64 v[72:73], v[72:73], s[16:17]
	v_mul_f64 v[74:75], v[74:75], s[16:17]
	v_add_f64 v[158:159], v[128:129], v[158:159]
	v_add_f64 v[160:161], v[130:131], v[160:161]
	v_fma_f64 v[42:43], v[42:43], s[18:19], v[10:11]
	v_fma_f64 v[118:119], v[118:119], s[18:19], v[14:15]
	v_fma_f64 v[144:145], v[66:67], s[14:15], v[144:145]
	v_fma_f64 v[146:147], v[70:71], s[14:15], v[146:147]
	v_add_f64 v[154:155], v[154:155], -v[66:67]
	v_add_f64 v[156:157], v[156:157], -v[70:71]
	v_fma_f64 v[66:67], v[66:67], s[24:25], -v[72:73]
	v_fma_f64 v[70:71], v[70:71], s[24:25], -v[74:75]
	v_add_f64 v[34:35], v[34:35], v[158:159]
	v_add_f64 v[72:73], v[86:87], v[160:161]
	v_fma_f64 v[42:43], v[76:77], s[20:21], v[42:43]
	v_fma_f64 v[74:75], v[82:83], s[20:21], v[118:119]
	v_add_f64 v[166:167], v[10:11], v[128:129]
	v_add_f64 v[168:169], v[14:15], v[130:131]
	v_fma_f64 v[44:45], v[44:45], s[0:1], v[66:67]
	v_fma_f64 v[58:59], v[58:59], s[0:1], v[70:71]
	v_add_f64 v[34:35], v[62:63], v[34:35]
	v_add_f64 v[62:63], v[90:91], v[72:73]
	v_fma_f64 v[42:43], v[128:129], -0.5, v[42:43]
	v_fma_f64 v[66:67], v[130:131], -0.5, v[74:75]
	v_add_f64 v[74:75], v[18:19], -v[2:3]
	v_fma_f64 v[132:133], v[128:129], -0.5, v[132:133]
	v_fma_f64 v[44:45], v[52:53], s[14:15], v[44:45]
	v_fma_f64 v[52:53], v[54:55], s[14:15], v[58:59]
	v_add_f64 v[10:11], v[10:11], v[34:35]
	v_add_f64 v[90:91], v[14:15], v[62:63]
	v_fma_f64 v[14:15], v[32:33], s[22:23], v[42:43]
	v_fma_f64 v[32:33], v[40:41], s[22:23], v[66:67]
	v_add_f64 v[34:35], v[56:57], v[16:17]
	v_add_f64 v[40:41], v[100:101], v[102:103]
	v_add_f64 v[16:17], v[56:57], -v[16:17]
	v_add_f64 v[56:57], v[100:101], -v[102:103]
	v_add_f64 v[42:43], v[28:29], v[64:65]
	v_add_f64 v[54:55], v[88:89], v[68:69]
	;; [unrolled: 1-line block ×4, first 2 shown]
	v_add_f64 v[28:29], v[28:29], -v[64:65]
	v_add_f64 v[64:65], v[88:89], -v[68:69]
	;; [unrolled: 1-line block ×4, first 2 shown]
	v_mul_f64 v[60:61], v[16:17], s[28:29]
	v_mul_f64 v[66:67], v[56:57], s[28:29]
	v_fma_f64 v[68:69], v[34:35], s[18:19], v[0:1]
	v_fma_f64 v[72:73], v[40:41], s[18:19], v[4:5]
	v_add_f64 v[88:89], v[20:21], -v[6:7]
	v_add_f64 v[92:93], v[18:19], v[2:3]
	v_add_f64 v[100:101], v[20:21], v[6:7]
	v_fma_f64 v[142:143], v[130:131], -0.5, v[142:143]
	v_fma_f64 v[60:61], v[28:29], s[16:17], v[60:61]
	v_fma_f64 v[66:67], v[64:65], s[16:17], v[66:67]
	;; [unrolled: 1-line block ×4, first 2 shown]
	v_mul_f64 v[102:103], v[74:75], s[24:25]
	v_mul_f64 v[118:119], v[88:89], s[24:25]
	v_fma_f64 v[128:129], v[92:93], s[18:19], v[0:1]
	v_fma_f64 v[130:131], v[100:101], s[18:19], v[4:5]
	;; [unrolled: 1-line block ×4, first 2 shown]
	v_fma_f64 v[68:69], v[58:59], -0.5, v[68:69]
	v_fma_f64 v[72:73], v[62:63], -0.5, v[72:73]
	v_fma_f64 v[102:103], v[16:17], s[16:17], v[102:103]
	v_fma_f64 v[118:119], v[56:57], s[16:17], v[118:119]
	;; [unrolled: 1-line block ×4, first 2 shown]
	v_fma_f64 v[166:167], v[170:171], -0.5, v[166:167]
	v_fma_f64 v[168:169], v[172:173], -0.5, v[168:169]
	v_fma_f64 v[60:61], v[74:75], s[14:15], v[60:61]
	v_fma_f64 v[66:67], v[88:89], s[14:15], v[66:67]
	;; [unrolled: 1-line block ×6, first 2 shown]
	v_fma_f64 v[128:129], v[58:59], -0.5, v[128:129]
	v_fma_f64 v[130:131], v[62:63], -0.5, v[130:131]
	v_fma_f64 v[132:133], v[76:77], s[22:23], v[132:133]
	v_fma_f64 v[142:143], v[82:83], s[22:23], v[142:143]
	v_mul_f64 v[162:163], v[154:155], s[0:1]
	v_mul_f64 v[164:165], v[156:157], s[0:1]
	v_fma_f64 v[76:77], v[156:157], s[0:1], v[166:167]
	v_fma_f64 v[82:83], v[154:155], s[26:27], v[168:169]
	v_add_f64 v[154:155], v[32:33], -v[44:45]
	v_add_f64 v[32:33], v[66:67], v[68:69]
	v_add_f64 v[156:157], v[72:73], -v[60:61]
	v_fma_f64 v[68:69], v[28:29], s[14:15], v[102:103]
	v_fma_f64 v[72:73], v[64:65], s[14:15], v[118:119]
	;; [unrolled: 1-line block ×4, first 2 shown]
	v_add_f64 v[130:131], v[88:89], v[56:57]
	v_fma_f64 v[128:129], v[44:45], 2.0, v[154:155]
	v_add_f64 v[44:45], v[74:75], v[16:17]
	v_fma_f64 v[158:159], v[60:61], 2.0, v[156:157]
	v_mul_f64 v[74:75], v[74:75], s[16:17]
	v_mul_f64 v[88:89], v[88:89], s[16:17]
	v_add_f64 v[60:61], v[72:73], v[102:103]
	v_add_f64 v[102:103], v[118:119], -v[68:69]
	v_add_f64 v[118:119], v[130:131], -v[64:65]
	v_fma_f64 v[130:131], v[42:43], s[18:19], v[0:1]
	v_fma_f64 v[160:161], v[54:55], s[18:19], v[4:5]
	v_add_f64 v[44:45], v[44:45], -v[28:29]
	v_add_f64 v[42:43], v[42:43], v[34:35]
	v_add_f64 v[54:55], v[54:55], v[40:41]
	v_fma_f64 v[28:29], v[28:29], s[24:25], -v[74:75]
	v_fma_f64 v[64:65], v[64:65], s[24:25], -v[88:89]
	v_add_f64 v[74:75], v[0:1], v[58:59]
	v_fma_f64 v[130:131], v[92:93], s[20:21], v[130:131]
	v_fma_f64 v[160:161], v[100:101], s[20:21], v[160:161]
	v_add_f64 v[88:89], v[4:5], v[62:63]
	v_add_f64 v[92:93], v[92:93], v[42:43]
	;; [unrolled: 1-line block ×3, first 2 shown]
	v_fma_f64 v[28:29], v[38:39], s[0:1], v[28:29]
	v_fma_f64 v[38:39], v[46:47], s[0:1], v[64:65]
	v_add_f64 v[42:43], v[58:59], v[42:43]
	v_add_f64 v[46:47], v[62:63], v[54:55]
	v_fma_f64 v[54:55], v[58:59], -0.5, v[130:131]
	v_fma_f64 v[58:59], v[62:63], -0.5, v[160:161]
	;; [unrolled: 1-line block ×4, first 2 shown]
	v_fma_f64 v[16:17], v[16:17], s[14:15], v[28:29]
	v_fma_f64 v[28:29], v[56:57], s[14:15], v[38:39]
	v_add_f64 v[18:19], v[18:19], v[42:43]
	v_add_f64 v[20:21], v[20:21], v[46:47]
	v_fma_f64 v[34:35], v[34:35], s[22:23], v[54:55]
	v_fma_f64 v[38:39], v[40:41], s[22:23], v[58:59]
	v_mul_f64 v[42:43], v[118:119], s[0:1]
	v_fma_f64 v[46:47], v[118:119], s[0:1], v[62:63]
	v_add_f64 v[14:15], v[52:53], v[14:15]
	v_add_f64 v[132:133], v[98:99], v[132:133]
	;; [unrolled: 1-line block ×5, first 2 shown]
	v_add_f64 v[20:21], v[38:39], -v[16:17]
	v_add_f64 v[148:149], v[146:147], v[148:149]
	v_mul_f64 v[40:41], v[44:45], s[0:1]
	v_fma_f64 v[88:89], v[44:45], s[26:27], v[64:65]
	v_fma_f64 v[34:35], v[72:73], -2.0, v[60:61]
	v_add_f64 v[0:1], v[0:1], v[2:3]
	v_add_f64 v[2:3], v[4:5], v[6:7]
	v_fma_f64 v[4:5], v[28:29], -2.0, v[18:19]
	v_fma_f64 v[38:39], v[42:43], -2.0, v[46:47]
	;; [unrolled: 1-line block ×4, first 2 shown]
	v_fma_f64 v[6:7], v[16:17], 2.0, v[20:21]
	v_lshl_add_u32 v16, v27, 3, 0
	v_fma_f64 v[70:71], v[164:165], -2.0, v[76:77]
	v_fma_f64 v[52:53], v[52:53], -2.0, v[14:15]
	v_add_u32_e32 v17, 0x1800, v16
	v_add_u32_e32 v27, 0x1c00, v16
	;; [unrolled: 1-line block ×3, first 2 shown]
	v_fma_f64 v[98:99], v[98:99], -2.0, v[132:133]
	v_fma_f64 v[146:147], v[146:147], -2.0, v[148:149]
	v_fma_f64 v[92:93], v[68:69], 2.0, v[102:103]
	v_fma_f64 v[100:101], v[40:41], 2.0, v[88:89]
	ds_write2_b64 v120, v[8:9], v[134:135] offset1:51
	ds_write2_b64 v120, v[114:115], v[48:49] offset0:102 offset1:153
	ds_write2_b64 v120, v[12:13], v[96:97] offset0:204 offset1:255
	;; [unrolled: 1-line block ×12, first 2 shown]
	ds_write_b64 v16, v[66:67] offset:10608
	s_waitcnt lgkmcnt(0)
	; wave barrier
	s_waitcnt lgkmcnt(0)
	ds_read2_b64 v[32:35], v120 offset1:51
	ds_read2_b64 v[38:41], v123 offset0:152 offset1:203
	ds_read2_b64 v[42:45], v122 offset0:150 offset1:201
	;; [unrolled: 1-line block ×12, first 2 shown]
	ds_read_b64 v[0:1], v120 offset:10608
	v_add_f64 v[140:141], v[140:141], -v[112:113]
	v_add_f64 v[142:143], v[142:143], -v[84:85]
	;; [unrolled: 1-line block ×3, first 2 shown]
	v_fma_f64 v[94:95], v[94:95], 2.0, v[30:31]
	v_fma_f64 v[86:87], v[162:163], 2.0, v[82:83]
	s_waitcnt lgkmcnt(0)
	; wave barrier
	s_waitcnt lgkmcnt(0)
	v_fma_f64 v[112:113], v[112:113], 2.0, v[140:141]
	v_fma_f64 v[84:85], v[84:85], 2.0, v[142:143]
	;; [unrolled: 1-line block ×3, first 2 shown]
	ds_write2_b64 v120, v[116:117], v[140:141] offset1:51
	ds_write2_b64 v120, v[152:153], v[106:107] offset0:102 offset1:153
	ds_write2_b64 v120, v[30:31], v[94:95] offset0:204 offset1:255
	;; [unrolled: 1-line block ×12, first 2 shown]
	ds_write_b64 v16, v[158:159] offset:10608
	s_waitcnt lgkmcnt(0)
	; wave barrier
	s_waitcnt lgkmcnt(0)
	s_and_saveexec_b64 s[0:1], vcc
	s_cbranch_execz .LBB0_21
; %bb.20:
	v_lshlrev_b32_e32 v36, 1, v26
	v_lshlrev_b64 v[2:3], 4, v[36:37]
	v_mov_b32_e32 v82, s13
	v_add_co_u32_e32 v2, vcc, s12, v2
	v_addc_co_u32_e32 v3, vcc, v82, v3, vcc
	v_add_co_u32_e32 v6, vcc, 0x1ba0, v2
	v_addc_co_u32_e32 v7, vcc, 0, v3, vcc
	;; [unrolled: 2-line block ×3, first 2 shown]
	global_load_dwordx4 v[2:5], v[20:21], off offset:2976
	global_load_dwordx4 v[16:19], v[6:7], off offset:16
	v_lshlrev_b32_e32 v36, 1, v25
	v_lshlrev_b64 v[6:7], 4, v[36:37]
	s_movk_i32 s1, 0x1ba0
	v_add_co_u32_e32 v20, vcc, s12, v6
	v_addc_co_u32_e32 v21, vcc, v82, v7, vcc
	v_add_co_u32_e32 v6, vcc, s1, v20
	s_movk_i32 s0, 0x1000
	v_addc_co_u32_e32 v7, vcc, 0, v21, vcc
	v_add_co_u32_e32 v20, vcc, s0, v20
	v_addc_co_u32_e32 v21, vcc, 0, v21, vcc
	global_load_dwordx4 v[25:28], v[20:21], off offset:2976
	global_load_dwordx4 v[84:87], v[6:7], off offset:16
	v_lshlrev_b32_e32 v36, 1, v24
	v_lshlrev_b64 v[6:7], 4, v[36:37]
	v_lshlrev_b32_e32 v36, 1, v23
	v_add_co_u32_e32 v20, vcc, s12, v6
	v_addc_co_u32_e32 v21, vcc, v82, v7, vcc
	v_add_co_u32_e32 v6, vcc, s1, v20
	v_addc_co_u32_e32 v7, vcc, 0, v21, vcc
	;; [unrolled: 2-line block ×3, first 2 shown]
	global_load_dwordx4 v[88:91], v[20:21], off offset:2976
	global_load_dwordx4 v[92:95], v[6:7], off offset:16
	v_lshlrev_b64 v[20:21], 4, v[36:37]
	v_add_u32_e32 v83, 0x1800, v120
	v_add_co_u32_e32 v29, vcc, s12, v20
	v_addc_co_u32_e32 v30, vcc, v82, v21, vcc
	v_add_co_u32_e32 v20, vcc, s1, v29
	v_addc_co_u32_e32 v21, vcc, 0, v30, vcc
	v_add_co_u32_e32 v29, vcc, s0, v29
	v_addc_co_u32_e32 v30, vcc, 0, v30, vcc
	ds_read_b64 v[6:7], v120 offset:10608
	ds_read2_b64 v[96:99], v83 offset0:48 offset1:99
	global_load_dwordx4 v[100:103], v[29:30], off offset:2976
	global_load_dwordx4 v[104:107], v[20:21], off offset:16
	v_lshlrev_b32_e32 v36, 1, v22
	v_lshlrev_b64 v[22:23], 4, v[36:37]
	v_add_u32_e32 v128, 0x800, v120
	v_add_co_u32_e32 v36, vcc, s12, v22
	v_addc_co_u32_e32 v129, vcc, v82, v23, vcc
	v_add_u32_e32 v131, 0x2000, v120
	v_mul_lo_u32 v24, s5, v138
	v_mul_lo_u32 v31, s4, v139
	v_mad_u64_u32 v[78:79], s[4:5], s4, v138, 0
	v_add_u32_e32 v135, 0x1000, v120
	v_add3_u32 v79, v79, v31, v24
	s_waitcnt vmcnt(7) lgkmcnt(0)
	v_mul_f64 v[20:21], v[4:5], v[98:99]
	s_waitcnt vmcnt(6)
	v_mul_f64 v[29:30], v[18:19], v[6:7]
	v_mul_f64 v[98:99], v[2:3], v[98:99]
	;; [unrolled: 1-line block ×3, first 2 shown]
	v_fma_f64 v[20:21], v[10:11], v[2:3], -v[20:21]
	v_fma_f64 v[29:30], v[0:1], v[16:17], -v[29:30]
	v_fma_f64 v[2:3], v[10:11], v[4:5], v[98:99]
	v_add_co_u32_e32 v4, vcc, s0, v36
	v_addc_co_u32_e32 v5, vcc, 0, v129, vcc
	v_fma_f64 v[0:1], v[0:1], v[18:19], v[6:7]
	global_load_dwordx4 v[108:111], v[4:5], off offset:2976
	ds_read2_b64 v[112:115], v128 offset0:152 offset1:203
	ds_read2_b64 v[16:19], v131 offset0:200 offset1:251
	v_add_f64 v[6:7], v[20:21], v[29:30]
	s_waitcnt vmcnt(6)
	v_mul_f64 v[10:11], v[25:26], v[96:97]
	v_mul_f64 v[96:97], v[27:28], v[96:97]
	ds_read2_b64 v[116:119], v135 offset0:202 offset1:253
	s_waitcnt vmcnt(5) lgkmcnt(1)
	v_mul_f64 v[22:23], v[84:85], v[18:19]
	v_mul_f64 v[18:19], v[86:87], v[18:19]
	v_add_f64 v[4:5], v[2:3], v[0:1]
	v_add_f64 v[98:99], v[20:21], -v[29:30]
	v_fma_f64 v[124:125], v[6:7], -0.5, v[38:39]
	v_add_f64 v[38:39], v[38:39], v[20:21]
	v_add_co_u32_e32 v20, vcc, s1, v36
	v_addc_co_u32_e32 v21, vcc, 0, v129, vcc
	v_fma_f64 v[126:127], v[14:15], v[86:87], v[22:23]
	v_fma_f64 v[24:25], v[8:9], v[25:26], -v[96:97]
	v_fma_f64 v[96:97], v[14:15], v[84:85], -v[18:19]
	global_load_dwordx4 v[84:87], v[20:21], off offset:16
	v_add_f64 v[122:123], v[2:3], v[112:113]
	v_fma_f64 v[4:5], v[4:5], -0.5, v[112:113]
	v_add_f64 v[112:113], v[2:3], -v[0:1]
	v_fma_f64 v[27:28], v[8:9], v[27:28], v[10:11]
	s_waitcnt vmcnt(5) lgkmcnt(0)
	v_mul_f64 v[14:15], v[88:89], v[118:119]
	s_waitcnt vmcnt(4)
	v_mul_f64 v[18:19], v[92:93], v[16:17]
	v_mul_f64 v[16:17], v[94:95], v[16:17]
	ds_read2_b64 v[20:23], v128 offset0:50 offset1:101
	v_add_f64 v[10:11], v[0:1], v[122:123]
	v_fma_f64 v[2:3], v[98:99], s[6:7], v[4:5]
	v_fma_f64 v[6:7], v[98:99], s[8:9], v[4:5]
	;; [unrolled: 1-line block ×4, first 2 shown]
	v_add_f64 v[8:9], v[27:28], v[126:127]
	v_mul_f64 v[112:113], v[90:91], v[118:119]
	v_fma_f64 v[124:125], v[72:73], v[90:91], v[14:15]
	v_fma_f64 v[94:95], v[12:13], v[94:95], v[18:19]
	v_add_f64 v[98:99], v[24:25], v[96:97]
	v_fma_f64 v[129:130], v[12:13], v[92:93], -v[16:17]
	v_add_f64 v[16:17], v[27:28], -v[126:127]
	v_add_f64 v[118:119], v[24:25], -v[96:97]
	s_waitcnt lgkmcnt(0)
	v_fma_f64 v[122:123], v[8:9], -0.5, v[22:23]
	v_add_f64 v[22:23], v[27:28], v[22:23]
	v_fma_f64 v[72:73], v[72:73], v[88:89], -v[112:113]
	v_add_f64 v[26:27], v[124:125], v[94:95]
	v_fma_f64 v[90:91], v[98:99], -0.5, v[76:77]
	v_add_f64 v[8:9], v[38:39], v[29:30]
	v_add_f64 v[24:25], v[76:77], v[24:25]
	;; [unrolled: 1-line block ×3, first 2 shown]
	v_lshlrev_b32_e32 v36, 1, v81
	v_fma_f64 v[14:15], v[118:119], s[6:7], v[122:123]
	v_add_f64 v[30:31], v[72:73], -v[129:130]
	v_fma_f64 v[38:39], v[26:27], -0.5, v[20:21]
	v_fma_f64 v[12:13], v[16:17], s[8:9], v[90:91]
	v_fma_f64 v[16:17], v[16:17], s[6:7], v[90:91]
	ds_read2_b64 v[88:91], v131 offset0:98 offset1:149
	v_add_f64 v[28:29], v[72:73], v[129:130]
	v_add_f64 v[20:21], v[24:25], v[96:97]
	v_add_f64 v[96:97], v[124:125], -v[94:95]
	s_waitcnt vmcnt(3)
	v_mul_f64 v[24:25], v[100:101], v[116:117]
	v_fma_f64 v[26:27], v[30:31], s[6:7], v[38:39]
	v_fma_f64 v[30:31], v[30:31], s[8:9], v[38:39]
	v_add_f64 v[38:39], v[94:95], v[76:77]
	s_waitcnt vmcnt(2) lgkmcnt(0)
	v_mul_f64 v[94:95], v[106:107], v[90:91]
	v_fma_f64 v[28:29], v[28:29], -0.5, v[74:75]
	v_mul_f64 v[92:93], v[104:105], v[90:91]
	v_mul_f64 v[76:77], v[102:103], v[116:117]
	v_fma_f64 v[131:132], v[70:71], v[102:103], v[24:25]
	v_add_f64 v[133:134], v[74:75], v[72:73]
	ds_read2_b64 v[72:75], v120 offset0:204 offset1:255
	v_fma_f64 v[18:19], v[118:119], s[8:9], v[122:123]
	v_fma_f64 v[138:139], v[68:69], v[104:105], -v[94:95]
	v_lshlrev_b64 v[94:95], 4, v[36:37]
	v_fma_f64 v[106:107], v[68:69], v[106:107], v[92:93]
	v_add_co_u32_e32 v36, vcc, s12, v94
	v_addc_co_u32_e32 v81, vcc, v82, v95, vcc
	v_add_co_u32_e32 v102, vcc, s1, v36
	v_addc_co_u32_e32 v103, vcc, 0, v81, vcc
	;; [unrolled: 2-line block ×3, first 2 shown]
	v_fma_f64 v[24:25], v[96:97], s[8:9], v[28:29]
	v_fma_f64 v[28:29], v[96:97], s[6:7], v[28:29]
	ds_read2_b64 v[90:93], v135 offset0:100 offset1:151
	v_fma_f64 v[76:77], v[70:71], v[100:101], -v[76:77]
	global_load_dwordx4 v[94:97], v[104:105], off offset:2976
	global_load_dwordx4 v[98:101], v[102:103], off offset:16
	v_lshlrev_b32_e32 v36, 1, v80
	v_lshlrev_b64 v[80:81], 4, v[36:37]
	s_waitcnt vmcnt(3) lgkmcnt(0)
	v_mul_f64 v[70:71], v[108:109], v[92:93]
	v_add_co_u32_e32 v36, vcc, s12, v80
	v_addc_co_u32_e32 v103, vcc, v82, v81, vcc
	v_add_co_u32_e32 v80, vcc, s1, v36
	v_addc_co_u32_e32 v81, vcc, 0, v103, vcc
	v_add_co_u32_e32 v102, vcc, s0, v36
	v_addc_co_u32_e32 v103, vcc, 0, v103, vcc
	global_load_dwordx4 v[102:105], v[102:103], off offset:2976
	s_nop 0
	global_load_dwordx4 v[116:119], v[80:81], off offset:16
	s_waitcnt vmcnt(4)
	v_mul_f64 v[80:81], v[84:85], v[88:89]
	v_lshlrev_b32_e32 v36, 1, v121
	v_fma_f64 v[146:147], v[64:65], v[110:111], v[70:71]
	v_lshlrev_b64 v[70:71], 4, v[36:37]
	v_mul_f64 v[144:145], v[86:87], v[88:89]
	v_add_co_u32_e32 v36, vcc, s12, v70
	v_mul_f64 v[92:93], v[110:111], v[92:93]
	v_fma_f64 v[80:81], v[66:67], v[86:87], v[80:81]
	v_addc_co_u32_e32 v87, vcc, v82, v71, vcc
	v_add_co_u32_e32 v70, vcc, s1, v36
	v_addc_co_u32_e32 v71, vcc, 0, v87, vcc
	v_add_co_u32_e32 v86, vcc, s0, v36
	v_addc_co_u32_e32 v87, vcc, 0, v87, vcc
	global_load_dwordx4 v[86:89], v[86:87], off offset:2976
	s_nop 0
	global_load_dwordx4 v[110:113], v[70:71], off offset:16
	v_lshlrev_b32_e32 v36, 1, v174
	v_lshlrev_b64 v[36:37], 4, v[36:37]
	v_add_f64 v[22:23], v[126:127], v[22:23]
	v_add_co_u32_e32 v70, vcc, s12, v36
	v_addc_co_u32_e32 v71, vcc, v82, v37, vcc
	v_add_co_u32_e32 v36, vcc, s1, v70
	v_addc_co_u32_e32 v37, vcc, 0, v71, vcc
	;; [unrolled: 2-line block ×3, first 2 shown]
	global_load_dwordx4 v[121:124], v[70:71], off offset:2976
	global_load_dwordx4 v[125:128], v[36:37], off offset:16
	v_add_f64 v[68:69], v[131:132], v[106:107]
	v_add_f64 v[142:143], v[76:77], v[138:139]
	v_add_f64 v[140:141], v[76:77], -v[138:139]
	v_fma_f64 v[148:149], v[64:65], v[108:109], -v[92:93]
	v_add_f64 v[92:93], v[146:147], v[80:81]
	v_fma_f64 v[84:85], v[66:67], v[84:85], -v[144:145]
	v_add_f64 v[36:37], v[133:134], v[129:130]
	v_add_f64 v[133:134], v[146:147], v[72:73]
	v_fma_f64 v[68:69], v[68:69], -0.5, v[74:75]
	v_add_f64 v[74:75], v[131:132], v[74:75]
	v_fma_f64 v[142:143], v[142:143], -0.5, v[60:61]
	v_add_f64 v[131:132], v[131:132], -v[106:107]
	v_add_f64 v[60:61], v[60:61], v[76:77]
	v_add_f64 v[76:77], v[148:149], v[84:85]
	v_add_f64 v[129:130], v[148:149], -v[84:85]
	v_add_u32_e32 v82, 0xc00, v120
	v_fma_f64 v[66:67], v[140:141], s[6:7], v[68:69]
	v_fma_f64 v[70:71], v[140:141], s[8:9], v[68:69]
	v_add_f64 v[74:75], v[106:107], v[74:75]
	v_fma_f64 v[64:65], v[131:132], s[8:9], v[142:143]
	v_fma_f64 v[68:69], v[131:132], s[6:7], v[142:143]
	v_fma_f64 v[131:132], v[92:93], -0.5, v[72:73]
	v_add_u32_e32 v72, 0x1c00, v120
	ds_read2_b64 v[106:109], v72 offset0:124 offset1:175
	v_add_f64 v[72:73], v[60:61], v[138:139]
	v_fma_f64 v[76:77], v[76:77], -0.5, v[58:59]
	s_waitcnt vmcnt(7)
	v_mul_f64 v[138:139], v[94:95], v[90:91]
	v_add_f64 v[142:143], v[146:147], -v[80:81]
	s_waitcnt vmcnt(6) lgkmcnt(0)
	v_mul_f64 v[140:141], v[98:99], v[108:109]
	v_add_f64 v[60:61], v[80:81], v[133:134]
	v_mul_f64 v[80:81], v[96:97], v[90:91]
	v_mul_f64 v[108:109], v[100:101], v[108:109]
	v_fma_f64 v[92:93], v[129:130], s[6:7], v[131:132]
	v_fma_f64 v[131:132], v[129:130], s[8:9], v[131:132]
	;; [unrolled: 1-line block ×5, first 2 shown]
	ds_read2_b64 v[138:141], v82 offset0:126 offset1:177
	v_fma_f64 v[129:130], v[142:143], s[6:7], v[76:77]
	v_fma_f64 v[62:63], v[62:63], v[94:95], -v[80:81]
	v_fma_f64 v[76:77], v[56:57], v[98:99], -v[108:109]
	v_add_f64 v[80:81], v[58:59], v[148:149]
	s_waitcnt vmcnt(5) lgkmcnt(0)
	v_mul_f64 v[94:95], v[102:103], v[140:141]
	s_waitcnt vmcnt(4)
	v_mul_f64 v[98:99], v[116:117], v[106:107]
	v_add_f64 v[108:109], v[96:97], v[100:101]
	v_mul_f64 v[133:134], v[104:105], v[140:141]
	v_mul_f64 v[106:107], v[118:119], v[106:107]
	ds_read2_b64 v[56:59], v120 offset0:102 offset1:153
	v_add_f64 v[140:141], v[62:63], v[76:77]
	v_add_f64 v[142:143], v[62:63], -v[76:77]
	v_fma_f64 v[104:105], v[52:53], v[104:105], v[94:95]
	v_fma_f64 v[118:119], v[54:55], v[118:119], v[98:99]
	s_waitcnt lgkmcnt(0)
	v_fma_f64 v[94:95], v[108:109], -0.5, v[58:59]
	v_add_f64 v[98:99], v[96:97], v[58:59]
	v_add_f64 v[58:59], v[80:81], v[84:85]
	v_fma_f64 v[108:109], v[52:53], v[102:103], -v[133:134]
	v_fma_f64 v[106:107], v[54:55], v[116:117], -v[106:107]
	v_fma_f64 v[102:103], v[140:141], -0.5, v[48:49]
	v_add_f64 v[48:49], v[48:49], v[62:63]
	v_add_f64 v[80:81], v[104:105], v[118:119]
	v_add_f64 v[116:117], v[96:97], -v[100:101]
	v_add_f64 v[100:101], v[100:101], v[98:99]
	v_fma_f64 v[54:55], v[142:143], s[6:7], v[94:95]
	v_fma_f64 v[96:97], v[142:143], s[8:9], v[94:95]
	v_add_f64 v[62:63], v[108:109], v[106:107]
	v_add_f64 v[133:134], v[108:109], -v[106:107]
	v_add_f64 v[98:99], v[48:49], v[76:77]
	v_fma_f64 v[140:141], v[80:81], -0.5, v[56:57]
	ds_read2_b64 v[80:83], v83 offset0:150 offset1:201
	v_add_f64 v[48:49], v[104:105], v[56:57]
	v_fma_f64 v[52:53], v[116:117], s[8:9], v[102:103]
	v_fma_f64 v[94:95], v[116:117], s[6:7], v[102:103]
	s_waitcnt vmcnt(3)
	v_mul_f64 v[76:77], v[86:87], v[138:139]
	s_waitcnt vmcnt(2) lgkmcnt(0)
	v_mul_f64 v[102:103], v[110:111], v[82:83]
	v_fma_f64 v[56:57], v[62:63], -0.5, v[46:47]
	v_add_f64 v[62:63], v[104:105], -v[118:119]
	v_mul_f64 v[116:117], v[88:89], v[138:139]
	v_add_f64 v[48:49], v[118:119], v[48:49]
	v_mul_f64 v[118:119], v[112:113], v[82:83]
	v_fma_f64 v[84:85], v[133:134], s[6:7], v[140:141]
	v_fma_f64 v[76:77], v[50:51], v[88:89], v[76:77]
	;; [unrolled: 1-line block ×3, first 2 shown]
	s_waitcnt vmcnt(1)
	v_mul_f64 v[88:89], v[121:122], v[114:115]
	v_fma_f64 v[104:105], v[133:134], s[8:9], v[140:141]
	v_fma_f64 v[50:51], v[50:51], v[86:87], -v[116:117]
	s_waitcnt vmcnt(0)
	v_mul_f64 v[133:134], v[125:126], v[80:81]
	v_fma_f64 v[44:45], v[44:45], v[110:111], -v[118:119]
	v_fma_f64 v[82:83], v[62:63], s[8:9], v[56:57]
	v_fma_f64 v[102:103], v[62:63], s[6:7], v[56:57]
	v_mul_f64 v[56:57], v[123:124], v[114:115]
	v_mul_f64 v[62:63], v[127:128], v[80:81]
	v_add_f64 v[110:111], v[76:77], v[112:113]
	v_fma_f64 v[80:81], v[40:41], v[123:124], v[88:89]
	ds_read2_b64 v[86:89], v120 offset1:51
	v_add_f64 v[46:47], v[46:47], v[108:109]
	v_add_f64 v[108:109], v[50:51], v[44:45]
	v_fma_f64 v[114:115], v[42:43], v[127:128], v[133:134]
	v_add_f64 v[116:117], v[50:51], -v[44:45]
	v_fma_f64 v[56:57], v[40:41], v[121:122], -v[56:57]
	v_fma_f64 v[62:63], v[42:43], v[125:126], -v[62:63]
	s_waitcnt lgkmcnt(0)
	v_fma_f64 v[110:111], v[110:111], -0.5, v[88:89]
	v_add_f64 v[88:89], v[76:77], v[88:89]
	v_add_f64 v[46:47], v[46:47], v[106:107]
	v_fma_f64 v[106:107], v[108:109], -0.5, v[34:35]
	v_add_f64 v[34:35], v[34:35], v[50:51]
	v_add_f64 v[40:41], v[80:81], v[114:115]
	v_add_f64 v[76:77], v[76:77], -v[112:113]
	s_mov_b32 s0, 0x4763d59d
	v_fma_f64 v[42:43], v[116:117], s[6:7], v[110:111]
	v_fma_f64 v[108:109], v[116:117], s[8:9], v[110:111]
	v_add_f64 v[116:117], v[56:57], v[62:63]
	v_mul_hi_u32 v120, v174, s0
	v_add_f64 v[110:111], v[34:35], v[44:45]
	v_add_f64 v[34:35], v[80:81], v[86:87]
	v_fma_f64 v[118:119], v[40:41], -0.5, v[86:87]
	v_fma_f64 v[40:41], v[76:77], s[8:9], v[106:107]
	v_fma_f64 v[106:107], v[76:77], s[6:7], v[106:107]
	v_add_f64 v[76:77], v[80:81], -v[114:115]
	v_lshrrev_b32_e32 v80, 7, v120
	v_mul_u32_u24_e32 v80, 0x1cb, v80
	v_add_f64 v[50:51], v[56:57], -v[62:63]
	v_fma_f64 v[44:45], v[116:117], -0.5, v[32:33]
	v_sub_u32_e32 v122, v174, v80
	v_add_f64 v[32:33], v[32:33], v[56:57]
	v_mad_u64_u32 v[80:81], s[4:5], s2, v122, 0
	v_add_f64 v[120:121], v[114:115], v[34:35]
	v_add_f64 v[112:113], v[112:113], v[88:89]
	v_mov_b32_e32 v34, v81
	v_mad_u64_u32 v[34:35], s[4:5], s3, v122, v[34:35]
	v_fma_f64 v[88:89], v[50:51], s[6:7], v[118:119]
	v_fma_f64 v[116:117], v[50:51], s[8:9], v[118:119]
	v_add_f64 v[118:119], v[32:33], v[62:63]
	v_lshlrev_b64 v[32:33], 4, v[78:79]
	v_fma_f64 v[86:87], v[76:77], s[8:9], v[44:45]
	v_fma_f64 v[114:115], v[76:77], s[6:7], v[44:45]
	v_mov_b32_e32 v81, v34
	v_mov_b32_e32 v34, s11
	v_add_co_u32_e32 v44, vcc, s10, v32
	v_add_u32_e32 v50, 0x1cb, v122
	v_addc_co_u32_e32 v45, vcc, v34, v33, vcc
	v_mad_u64_u32 v[34:35], s[4:5], s2, v50, 0
	v_lshlrev_b64 v[32:33], 4, v[136:137]
	s_movk_i32 s1, 0x561
	v_add_co_u32_e32 v32, vcc, v44, v32
	v_mad_u64_u32 v[50:51], s[4:5], s3, v50, v[35:36]
	v_addc_co_u32_e32 v33, vcc, v45, v33, vcc
	v_lshlrev_b64 v[44:45], 4, v[80:81]
	v_mov_b32_e32 v35, v50
	v_add_co_u32_e32 v44, vcc, v32, v44
	v_addc_co_u32_e32 v45, vcc, v33, v45, vcc
	v_add_u32_e32 v50, 0x396, v122
	global_store_dwordx4 v[44:45], v[118:121], off
	v_mad_u64_u32 v[44:45], s[4:5], s2, v50, 0
	v_lshlrev_b64 v[34:35], 4, v[34:35]
	v_mad_u64_u32 v[50:51], s[4:5], s3, v50, v[45:46]
	v_add_u32_e32 v51, 51, v174
	v_mul_hi_u32 v56, v51, s0
	v_add_co_u32_e32 v34, vcc, v32, v34
	v_addc_co_u32_e32 v35, vcc, v33, v35, vcc
	v_mov_b32_e32 v45, v50
	global_store_dwordx4 v[34:35], v[114:117], off
	v_lshlrev_b64 v[34:35], 4, v[44:45]
	v_lshrrev_b32_e32 v44, 7, v56
	v_mul_u32_u24_e32 v45, 0x1cb, v44
	v_sub_u32_e32 v45, v51, v45
	v_mad_u32_u24 v62, v44, s1, v45
	v_mad_u64_u32 v[44:45], s[4:5], s2, v62, 0
	v_add_co_u32_e32 v34, vcc, v32, v34
	v_mad_u64_u32 v[50:51], s[4:5], s3, v62, v[45:46]
	v_add_u32_e32 v51, 0x1cb, v62
	v_mad_u64_u32 v[56:57], s[4:5], s2, v51, 0
	v_addc_co_u32_e32 v35, vcc, v33, v35, vcc
	v_mov_b32_e32 v45, v50
	global_store_dwordx4 v[34:35], v[86:89], off
	v_lshlrev_b64 v[34:35], 4, v[44:45]
	v_mov_b32_e32 v44, v57
	v_mad_u64_u32 v[44:45], s[4:5], s3, v51, v[44:45]
	v_add_u32_e32 v50, 0x396, v62
	v_add_co_u32_e32 v34, vcc, v32, v34
	v_mov_b32_e32 v57, v44
	v_mad_u64_u32 v[44:45], s[4:5], s2, v50, 0
	v_addc_co_u32_e32 v35, vcc, v33, v35, vcc
	v_mad_u64_u32 v[50:51], s[4:5], s3, v50, v[45:46]
	v_add_u32_e32 v51, 0x66, v174
	global_store_dwordx4 v[34:35], v[110:113], off
	v_lshlrev_b64 v[34:35], 4, v[56:57]
	v_mul_hi_u32 v56, v51, s0
	v_add_co_u32_e32 v34, vcc, v32, v34
	v_addc_co_u32_e32 v35, vcc, v33, v35, vcc
	v_mov_b32_e32 v45, v50
	global_store_dwordx4 v[34:35], v[106:109], off
	v_lshlrev_b64 v[34:35], 4, v[44:45]
	v_lshrrev_b32_e32 v44, 7, v56
	v_mul_u32_u24_e32 v45, 0x1cb, v44
	v_sub_u32_e32 v45, v51, v45
	v_mad_u32_u24 v62, v44, s1, v45
	v_mad_u64_u32 v[44:45], s[4:5], s2, v62, 0
	v_add_co_u32_e32 v34, vcc, v32, v34
	v_mad_u64_u32 v[50:51], s[4:5], s3, v62, v[45:46]
	v_add_u32_e32 v51, 0x1cb, v62
	v_mad_u64_u32 v[56:57], s[4:5], s2, v51, 0
	v_addc_co_u32_e32 v35, vcc, v33, v35, vcc
	global_store_dwordx4 v[34:35], v[40:43], off
	v_mov_b32_e32 v45, v50
	v_mov_b32_e32 v40, v57
	v_mad_u64_u32 v[40:41], s[4:5], s3, v51, v[40:41]
	v_add_u32_e32 v42, 0x396, v62
	v_lshlrev_b64 v[34:35], 4, v[44:45]
	v_mov_b32_e32 v57, v40
	v_mad_u64_u32 v[40:41], s[4:5], s2, v42, 0
	v_add_co_u32_e32 v34, vcc, v32, v34
	v_mad_u64_u32 v[41:42], s[4:5], s3, v42, v[41:42]
	v_addc_co_u32_e32 v35, vcc, v33, v35, vcc
	v_add_u32_e32 v42, 0x99, v174
	global_store_dwordx4 v[34:35], v[46:49], off
	v_lshlrev_b64 v[34:35], 4, v[56:57]
	v_mul_hi_u32 v43, v42, s0
	v_add_co_u32_e32 v34, vcc, v32, v34
	v_addc_co_u32_e32 v35, vcc, v33, v35, vcc
	global_store_dwordx4 v[34:35], v[102:105], off
	v_lshlrev_b64 v[34:35], 4, v[40:41]
	v_lshrrev_b32_e32 v40, 7, v43
	v_mul_u32_u24_e32 v41, 0x1cb, v40
	v_sub_u32_e32 v41, v42, v41
	v_mad_u32_u24 v44, v40, s1, v41
	v_mad_u64_u32 v[40:41], s[4:5], s2, v44, 0
	v_add_u32_e32 v45, 0x1cb, v44
	v_add_co_u32_e32 v34, vcc, v32, v34
	v_mad_u64_u32 v[41:42], s[4:5], s3, v44, v[41:42]
	v_mad_u64_u32 v[42:43], s[4:5], s2, v45, 0
	v_addc_co_u32_e32 v35, vcc, v33, v35, vcc
	global_store_dwordx4 v[34:35], v[82:85], off
	v_lshlrev_b64 v[34:35], 4, v[40:41]
	v_mov_b32_e32 v40, v43
	v_mad_u64_u32 v[40:41], s[4:5], s3, v45, v[40:41]
	v_add_co_u32_e32 v34, vcc, v32, v34
	v_addc_co_u32_e32 v35, vcc, v33, v35, vcc
	v_mov_b32_e32 v43, v40
	global_store_dwordx4 v[34:35], v[98:101], off
	v_lshlrev_b64 v[34:35], 4, v[42:43]
	v_add_u32_e32 v42, 0x396, v44
	v_mad_u64_u32 v[40:41], s[4:5], s2, v42, 0
	v_add_co_u32_e32 v34, vcc, v32, v34
	v_mad_u64_u32 v[41:42], s[4:5], s3, v42, v[41:42]
	v_add_u32_e32 v42, 0xcc, v174
	v_mul_hi_u32 v43, v42, s0
	v_addc_co_u32_e32 v35, vcc, v33, v35, vcc
	global_store_dwordx4 v[34:35], v[94:97], off
	v_lshlrev_b64 v[34:35], 4, v[40:41]
	v_lshrrev_b32_e32 v40, 7, v43
	v_mul_u32_u24_e32 v41, 0x1cb, v40
	v_sub_u32_e32 v41, v42, v41
	v_mad_u32_u24 v44, v40, s1, v41
	v_mad_u64_u32 v[40:41], s[4:5], s2, v44, 0
	v_add_u32_e32 v45, 0x1cb, v44
	v_add_co_u32_e32 v34, vcc, v32, v34
	v_mad_u64_u32 v[41:42], s[4:5], s3, v44, v[41:42]
	v_mad_u64_u32 v[42:43], s[4:5], s2, v45, 0
	v_addc_co_u32_e32 v35, vcc, v33, v35, vcc
	global_store_dwordx4 v[34:35], v[52:55], off
	v_lshlrev_b64 v[34:35], 4, v[40:41]
	v_mov_b32_e32 v40, v43
	v_mad_u64_u32 v[40:41], s[4:5], s3, v45, v[40:41]
	v_add_co_u32_e32 v34, vcc, v32, v34
	v_addc_co_u32_e32 v35, vcc, v33, v35, vcc
	v_mov_b32_e32 v43, v40
	global_store_dwordx4 v[34:35], v[58:61], off
	v_lshlrev_b64 v[34:35], 4, v[42:43]
	v_add_u32_e32 v42, 0x396, v44
	v_mad_u64_u32 v[40:41], s[4:5], s2, v42, 0
	v_add_co_u32_e32 v34, vcc, v32, v34
	v_mad_u64_u32 v[41:42], s[4:5], s3, v42, v[41:42]
	v_add_u32_e32 v42, 0xff, v174
	v_mul_hi_u32 v43, v42, s0
	;; [unrolled: 28-line block ×3, first 2 shown]
	v_addc_co_u32_e32 v35, vcc, v33, v35, vcc
	global_store_dwordx4 v[34:35], v[68:71], off
	v_lshlrev_b64 v[34:35], 4, v[40:41]
	v_lshrrev_b32_e32 v40, 7, v43
	v_mul_u32_u24_e32 v41, 0x1cb, v40
	v_sub_u32_e32 v41, v42, v41
	v_mad_u32_u24 v44, v40, s1, v41
	v_mad_u64_u32 v[40:41], s[4:5], s2, v44, 0
	v_add_co_u32_e32 v34, vcc, v32, v34
	v_mad_u64_u32 v[41:42], s[4:5], s3, v44, v[41:42]
	v_addc_co_u32_e32 v35, vcc, v33, v35, vcc
	v_add_u32_e32 v45, 0x1cb, v44
	global_store_dwordx4 v[34:35], v[64:67], off
	v_lshlrev_b64 v[34:35], 4, v[40:41]
	v_mad_u64_u32 v[42:43], s[4:5], s2, v45, 0
	v_add_co_u32_e32 v34, vcc, v32, v34
	v_addc_co_u32_e32 v35, vcc, v33, v35, vcc
	global_store_dwordx4 v[34:35], v[36:39], off
	v_mov_b32_e32 v40, v43
	v_add_u32_e32 v38, 0x396, v44
	v_mad_u64_u32 v[36:37], s[4:5], s2, v38, 0
	v_mad_u64_u32 v[40:41], s[4:5], s3, v45, v[40:41]
	;; [unrolled: 1-line block ×3, first 2 shown]
	v_mov_b32_e32 v43, v40
	v_add_u32_e32 v38, 0x165, v174
	v_lshlrev_b64 v[34:35], 4, v[42:43]
	v_mul_hi_u32 v39, v38, s0
	v_add_co_u32_e32 v34, vcc, v32, v34
	v_addc_co_u32_e32 v35, vcc, v33, v35, vcc
	global_store_dwordx4 v[34:35], v[28:31], off
	s_nop 0
	v_lshrrev_b32_e32 v30, 7, v39
	v_mul_u32_u24_e32 v31, 0x1cb, v30
	v_sub_u32_e32 v31, v38, v31
	v_lshlrev_b64 v[28:29], 4, v[36:37]
	v_mad_u32_u24 v37, v30, s1, v31
	v_mad_u64_u32 v[30:31], s[4:5], s2, v37, 0
	v_add_u32_e32 v38, 0x1cb, v37
	v_add_co_u32_e32 v28, vcc, v32, v28
	v_mad_u64_u32 v[34:35], s[4:5], s3, v37, v[31:32]
	v_mad_u64_u32 v[35:36], s[4:5], s2, v38, 0
	v_addc_co_u32_e32 v29, vcc, v33, v29, vcc
	v_mov_b32_e32 v31, v34
	global_store_dwordx4 v[28:29], v[24:27], off
	s_nop 0
	v_lshlrev_b64 v[24:25], 4, v[30:31]
	v_mov_b32_e32 v26, v36
	v_mad_u64_u32 v[26:27], s[4:5], s3, v38, v[26:27]
	v_add_co_u32_e32 v24, vcc, v32, v24
	v_addc_co_u32_e32 v25, vcc, v33, v25, vcc
	global_store_dwordx4 v[24:25], v[20:23], off
	v_add_u32_e32 v24, 0x396, v37
	v_mad_u64_u32 v[22:23], s[4:5], s2, v24, 0
	v_add_u32_e32 v25, 0x198, v174
	v_mov_b32_e32 v36, v26
	v_mul_hi_u32 v26, v25, s0
	v_mad_u64_u32 v[23:24], s[4:5], s3, v24, v[23:24]
	v_lshlrev_b64 v[20:21], 4, v[35:36]
	v_lshrrev_b32_e32 v24, 7, v26
	v_mul_u32_u24_e32 v26, 0x1cb, v24
	v_add_co_u32_e32 v20, vcc, v32, v20
	v_sub_u32_e32 v25, v25, v26
	v_addc_co_u32_e32 v21, vcc, v33, v21, vcc
	v_mad_u32_u24 v26, v24, s1, v25
	v_mad_u64_u32 v[24:25], s[0:1], s2, v26, 0
	global_store_dwordx4 v[20:21], v[16:19], off
	s_nop 0
	v_lshlrev_b64 v[16:17], 4, v[22:23]
	v_mov_b32_e32 v18, v25
	v_add_co_u32_e32 v16, vcc, v32, v16
	v_addc_co_u32_e32 v17, vcc, v33, v17, vcc
	global_store_dwordx4 v[16:17], v[12:15], off
	v_add_u32_e32 v16, 0x1cb, v26
	v_mad_u64_u32 v[18:19], s[0:1], s3, v26, v[18:19]
	v_mad_u64_u32 v[14:15], s[0:1], s2, v16, 0
	v_mov_b32_e32 v25, v18
	v_add_u32_e32 v18, 0x396, v26
	v_mad_u64_u32 v[15:16], s[0:1], s3, v16, v[15:16]
	v_lshlrev_b64 v[12:13], 4, v[24:25]
	v_mad_u64_u32 v[16:17], s[0:1], s2, v18, 0
	v_add_co_u32_e32 v12, vcc, v32, v12
	v_addc_co_u32_e32 v13, vcc, v33, v13, vcc
	global_store_dwordx4 v[12:13], v[8:11], off
	s_nop 0
	v_mov_b32_e32 v10, v17
	v_mad_u64_u32 v[10:11], s[0:1], s3, v18, v[10:11]
	v_lshlrev_b64 v[8:9], 4, v[14:15]
	v_add_co_u32_e32 v8, vcc, v32, v8
	v_addc_co_u32_e32 v9, vcc, v33, v9, vcc
	v_mov_b32_e32 v17, v10
	global_store_dwordx4 v[8:9], v[4:7], off
	s_nop 0
	v_lshlrev_b64 v[4:5], 4, v[16:17]
	v_add_co_u32_e32 v4, vcc, v32, v4
	v_addc_co_u32_e32 v5, vcc, v33, v5, vcc
	global_store_dwordx4 v[4:5], v[0:3], off
.LBB0_21:
	s_endpgm
	.section	.rodata,"a",@progbits
	.p2align	6, 0x0
	.amdhsa_kernel fft_rtc_fwd_len1377_factors_17_3_9_3_wgs_51_tpt_51_halfLds_dp_op_CI_CI_sbrr_dirReg
		.amdhsa_group_segment_fixed_size 0
		.amdhsa_private_segment_fixed_size 0
		.amdhsa_kernarg_size 104
		.amdhsa_user_sgpr_count 6
		.amdhsa_user_sgpr_private_segment_buffer 1
		.amdhsa_user_sgpr_dispatch_ptr 0
		.amdhsa_user_sgpr_queue_ptr 0
		.amdhsa_user_sgpr_kernarg_segment_ptr 1
		.amdhsa_user_sgpr_dispatch_id 0
		.amdhsa_user_sgpr_flat_scratch_init 0
		.amdhsa_user_sgpr_private_segment_size 0
		.amdhsa_uses_dynamic_stack 0
		.amdhsa_system_sgpr_private_segment_wavefront_offset 0
		.amdhsa_system_sgpr_workgroup_id_x 1
		.amdhsa_system_sgpr_workgroup_id_y 0
		.amdhsa_system_sgpr_workgroup_id_z 0
		.amdhsa_system_sgpr_workgroup_info 0
		.amdhsa_system_vgpr_workitem_id 0
		.amdhsa_next_free_vgpr 230
		.amdhsa_next_free_sgpr 62
		.amdhsa_reserve_vcc 1
		.amdhsa_reserve_flat_scratch 0
		.amdhsa_float_round_mode_32 0
		.amdhsa_float_round_mode_16_64 0
		.amdhsa_float_denorm_mode_32 3
		.amdhsa_float_denorm_mode_16_64 3
		.amdhsa_dx10_clamp 1
		.amdhsa_ieee_mode 1
		.amdhsa_fp16_overflow 0
		.amdhsa_exception_fp_ieee_invalid_op 0
		.amdhsa_exception_fp_denorm_src 0
		.amdhsa_exception_fp_ieee_div_zero 0
		.amdhsa_exception_fp_ieee_overflow 0
		.amdhsa_exception_fp_ieee_underflow 0
		.amdhsa_exception_fp_ieee_inexact 0
		.amdhsa_exception_int_div_zero 0
	.end_amdhsa_kernel
	.text
.Lfunc_end0:
	.size	fft_rtc_fwd_len1377_factors_17_3_9_3_wgs_51_tpt_51_halfLds_dp_op_CI_CI_sbrr_dirReg, .Lfunc_end0-fft_rtc_fwd_len1377_factors_17_3_9_3_wgs_51_tpt_51_halfLds_dp_op_CI_CI_sbrr_dirReg
                                        ; -- End function
	.section	.AMDGPU.csdata,"",@progbits
; Kernel info:
; codeLenInByte = 27012
; NumSgprs: 66
; NumVgprs: 230
; ScratchSize: 0
; MemoryBound: 1
; FloatMode: 240
; IeeeMode: 1
; LDSByteSize: 0 bytes/workgroup (compile time only)
; SGPRBlocks: 8
; VGPRBlocks: 57
; NumSGPRsForWavesPerEU: 66
; NumVGPRsForWavesPerEU: 230
; Occupancy: 1
; WaveLimiterHint : 1
; COMPUTE_PGM_RSRC2:SCRATCH_EN: 0
; COMPUTE_PGM_RSRC2:USER_SGPR: 6
; COMPUTE_PGM_RSRC2:TRAP_HANDLER: 0
; COMPUTE_PGM_RSRC2:TGID_X_EN: 1
; COMPUTE_PGM_RSRC2:TGID_Y_EN: 0
; COMPUTE_PGM_RSRC2:TGID_Z_EN: 0
; COMPUTE_PGM_RSRC2:TIDIG_COMP_CNT: 0
	.type	__hip_cuid_868a3daca356c56,@object ; @__hip_cuid_868a3daca356c56
	.section	.bss,"aw",@nobits
	.globl	__hip_cuid_868a3daca356c56
__hip_cuid_868a3daca356c56:
	.byte	0                               ; 0x0
	.size	__hip_cuid_868a3daca356c56, 1

	.ident	"AMD clang version 19.0.0git (https://github.com/RadeonOpenCompute/llvm-project roc-6.4.0 25133 c7fe45cf4b819c5991fe208aaa96edf142730f1d)"
	.section	".note.GNU-stack","",@progbits
	.addrsig
	.addrsig_sym __hip_cuid_868a3daca356c56
	.amdgpu_metadata
---
amdhsa.kernels:
  - .args:
      - .actual_access:  read_only
        .address_space:  global
        .offset:         0
        .size:           8
        .value_kind:     global_buffer
      - .offset:         8
        .size:           8
        .value_kind:     by_value
      - .actual_access:  read_only
        .address_space:  global
        .offset:         16
        .size:           8
        .value_kind:     global_buffer
      - .actual_access:  read_only
        .address_space:  global
        .offset:         24
        .size:           8
        .value_kind:     global_buffer
      - .actual_access:  read_only
        .address_space:  global
        .offset:         32
        .size:           8
        .value_kind:     global_buffer
      - .offset:         40
        .size:           8
        .value_kind:     by_value
      - .actual_access:  read_only
        .address_space:  global
        .offset:         48
        .size:           8
        .value_kind:     global_buffer
      - .actual_access:  read_only
        .address_space:  global
        .offset:         56
        .size:           8
        .value_kind:     global_buffer
      - .offset:         64
        .size:           4
        .value_kind:     by_value
      - .actual_access:  read_only
        .address_space:  global
        .offset:         72
        .size:           8
        .value_kind:     global_buffer
      - .actual_access:  read_only
        .address_space:  global
        .offset:         80
        .size:           8
        .value_kind:     global_buffer
      - .actual_access:  read_only
        .address_space:  global
        .offset:         88
        .size:           8
        .value_kind:     global_buffer
      - .actual_access:  write_only
        .address_space:  global
        .offset:         96
        .size:           8
        .value_kind:     global_buffer
    .group_segment_fixed_size: 0
    .kernarg_segment_align: 8
    .kernarg_segment_size: 104
    .language:       OpenCL C
    .language_version:
      - 2
      - 0
    .max_flat_workgroup_size: 51
    .name:           fft_rtc_fwd_len1377_factors_17_3_9_3_wgs_51_tpt_51_halfLds_dp_op_CI_CI_sbrr_dirReg
    .private_segment_fixed_size: 0
    .sgpr_count:     66
    .sgpr_spill_count: 0
    .symbol:         fft_rtc_fwd_len1377_factors_17_3_9_3_wgs_51_tpt_51_halfLds_dp_op_CI_CI_sbrr_dirReg.kd
    .uniform_work_group_size: 1
    .uses_dynamic_stack: false
    .vgpr_count:     230
    .vgpr_spill_count: 0
    .wavefront_size: 64
amdhsa.target:   amdgcn-amd-amdhsa--gfx906
amdhsa.version:
  - 1
  - 2
...

	.end_amdgpu_metadata
